;; amdgpu-corpus repo=ROCm/hipCUB kind=compiled arch=gfx1250 opt=O3
	.amdgcn_target "amdgcn-amd-amdhsa--gfx1250"
	.amdhsa_code_object_version 6
	.section	.text._Z17flag_heads_kernelIsb15custom_flag_op1IsELj234ELj9EEvPT_Px,"axG",@progbits,_Z17flag_heads_kernelIsb15custom_flag_op1IsELj234ELj9EEvPT_Px,comdat
	.protected	_Z17flag_heads_kernelIsb15custom_flag_op1IsELj234ELj9EEvPT_Px ; -- Begin function _Z17flag_heads_kernelIsb15custom_flag_op1IsELj234ELj9EEvPT_Px
	.globl	_Z17flag_heads_kernelIsb15custom_flag_op1IsELj234ELj9EEvPT_Px
	.p2align	8
	.type	_Z17flag_heads_kernelIsb15custom_flag_op1IsELj234ELj9EEvPT_Px,@function
_Z17flag_heads_kernelIsb15custom_flag_op1IsELj234ELj9EEvPT_Px: ; @_Z17flag_heads_kernelIsb15custom_flag_op1IsELj234ELj9EEvPT_Px
; %bb.0:
	s_load_b128 s[0:3], s[0:1], 0x0
	s_bfe_u32 s4, ttmp6, 0x4000c
	s_and_b32 s5, ttmp6, 15
	s_add_co_i32 s4, s4, 1
	s_getreg_b32 s6, hwreg(HW_REG_IB_STS2, 6, 4)
	s_mul_i32 s4, ttmp9, s4
	v_mul_u32_u24_e32 v1, 9, v0
	s_add_co_i32 s5, s5, s4
	s_cmp_eq_u32 s6, 0
	s_cselect_b32 s8, ttmp9, s5
	s_mov_b32 s5, 0
	s_mul_i32 s4, s8, 0x83a
	v_lshlrev_b32_e32 v6, 1, v1
	s_lshl_b64 s[6:7], s[4:5], 1
	s_bitcmp0_b32 s8, 0
	s_wait_kmcnt 0x0
	s_add_nc_u64 s[6:7], s[0:1], s[6:7]
	s_clause 0x1
	global_load_b128 v[2:5], v6, s[6:7]
	global_load_u16 v11, v1, s[6:7] offset:16 scale_offset
	s_wait_loadcnt 0x1
	s_wait_xcnt 0x1
	v_dual_lshlrev_b32 v6, 1, v0 :: v_dual_lshrrev_b32 v10, 16, v5
	v_dual_lshrrev_b32 v8, 16, v3 :: v_dual_lshrrev_b32 v7, 16, v2
	v_lshrrev_b32_e32 v9, 16, v4
	s_wait_loadcnt 0x0
	s_delay_alu instid0(VALU_DEP_3)
	v_cmp_ne_u16_e32 vcc_lo, v11, v10
	s_cbranch_scc1 .LBB0_22
; %bb.1:
	s_add_co_i32 s6, s4, -1
	ds_store_b16 v6, v11
	v_mov_b32_e32 v12, s6
	global_load_u16 v12, v12, s[0:1] scale_offset
	s_wait_xcnt 0x0
	s_mov_b32 s1, -1
	s_mov_b32 s0, -1
	s_and_saveexec_b32 s6, vcc_lo
; %bb.2:
	s_movk_i32 s0, 0xcccd
	s_delay_alu instid0(SALU_CYCLE_1) | instskip(NEXT) | instid1(VALU_DEP_1)
	v_mad_u16 v13, v1, s0, 0x6668
	v_lshlrev_b16 v14, 15, v13
	v_lshrrev_b16 v13, 1, v13
	s_delay_alu instid0(VALU_DEP_1) | instskip(NEXT) | instid1(VALU_DEP_1)
	v_or_b32_e32 v13, v13, v14
	v_cmp_gt_u16_e32 vcc_lo, 0x199a, v13
	s_or_not1_b32 s0, vcc_lo, exec_lo
; %bb.3:
	s_or_b32 exec_lo, exec_lo, s6
	s_delay_alu instid0(SALU_CYCLE_1)
	s_mov_b32 s6, exec_lo
	v_cmpx_ne_u16_e64 v10, v5
; %bb.4:
	s_movk_i32 s1, 0xcccd
	s_delay_alu instid0(SALU_CYCLE_1) | instskip(NEXT) | instid1(VALU_DEP_1)
	v_mad_u16 v13, v1, s1, 0x999b
	v_lshlrev_b16 v14, 15, v13
	v_lshrrev_b16 v13, 1, v13
	s_delay_alu instid0(VALU_DEP_1) | instskip(NEXT) | instid1(VALU_DEP_1)
	v_or_b32_e32 v13, v13, v14
	v_cmp_gt_u16_e32 vcc_lo, 0x199a, v13
	s_or_not1_b32 s1, vcc_lo, exec_lo
; %bb.5:
	s_or_b32 exec_lo, exec_lo, s6
	s_mov_b32 s6, -1
	s_mov_b32 s7, -1
	s_mov_b32 s8, exec_lo
	v_cmpx_ne_u16_e64 v5, v9
; %bb.6:
	s_movk_i32 s7, 0xcccd
	s_delay_alu instid0(SALU_CYCLE_1) | instskip(NEXT) | instid1(VALU_DEP_1)
	v_mad_u16 v13, v1, s7, 0xccce
	v_lshlrev_b16 v14, 15, v13
	v_lshrrev_b16 v13, 1, v13
	s_delay_alu instid0(VALU_DEP_1) | instskip(NEXT) | instid1(VALU_DEP_1)
	v_or_b32_e32 v13, v13, v14
	v_cmp_gt_u16_e32 vcc_lo, 0x199a, v13
	s_or_not1_b32 s7, vcc_lo, exec_lo
; %bb.7:
	s_or_b32 exec_lo, exec_lo, s8
	s_delay_alu instid0(SALU_CYCLE_1)
	s_mov_b32 s8, exec_lo
	v_cmpx_ne_u16_e64 v9, v4
; %bb.8:
	v_mad_u16 v13, 0xcccd, v1, 1
	s_delay_alu instid0(VALU_DEP_1) | instskip(SKIP_1) | instid1(VALU_DEP_1)
	v_lshlrev_b16 v14, 15, v13
	v_lshrrev_b16 v13, 1, v13
	v_or_b32_e32 v13, v13, v14
	s_delay_alu instid0(VALU_DEP_1)
	v_cmp_gt_u16_e32 vcc_lo, 0x199a, v13
	s_or_not1_b32 s6, vcc_lo, exec_lo
; %bb.9:
	s_or_b32 exec_lo, exec_lo, s8
	s_mov_b32 s9, -1
	s_mov_b32 s8, -1
	s_mov_b32 s10, exec_lo
	v_cmpx_ne_u16_e64 v4, v8
; %bb.10:
	s_movk_i32 s8, 0xcccd
	s_delay_alu instid0(SALU_CYCLE_1) | instskip(NEXT) | instid1(VALU_DEP_1)
	v_mad_u16 v13, v1, s8, 0x3334
	v_lshlrev_b16 v14, 15, v13
	v_lshrrev_b16 v13, 1, v13
	s_delay_alu instid0(VALU_DEP_1) | instskip(NEXT) | instid1(VALU_DEP_1)
	v_or_b32_e32 v13, v13, v14
	v_cmp_gt_u16_e32 vcc_lo, 0x199a, v13
	s_or_not1_b32 s8, vcc_lo, exec_lo
; %bb.11:
	s_or_b32 exec_lo, exec_lo, s10
	s_delay_alu instid0(SALU_CYCLE_1)
	s_mov_b32 s10, exec_lo
	v_cmpx_ne_u16_e64 v8, v3
; %bb.12:
	s_movk_i32 s9, 0xcccd
	s_delay_alu instid0(SALU_CYCLE_1) | instskip(NEXT) | instid1(VALU_DEP_1)
	v_mad_u16 v13, v1, s9, 0x6667
	v_lshlrev_b16 v14, 15, v13
	v_lshrrev_b16 v13, 1, v13
	s_delay_alu instid0(VALU_DEP_1) | instskip(NEXT) | instid1(VALU_DEP_1)
	v_or_b32_e32 v13, v13, v14
	v_cmp_gt_u16_e32 vcc_lo, 0x199a, v13
	s_or_not1_b32 s9, vcc_lo, exec_lo
; %bb.13:
	s_or_b32 exec_lo, exec_lo, s10
	s_mov_b32 s10, -1
	s_mov_b32 s11, -1
	s_mov_b32 s12, exec_lo
	v_cmpx_ne_u16_e64 v3, v7
; %bb.14:
	s_movk_i32 s11, 0xcccd
	s_delay_alu instid0(SALU_CYCLE_1) | instskip(NEXT) | instid1(VALU_DEP_1)
	v_mad_u16 v13, v1, s11, 0x999a
	v_lshlrev_b16 v14, 15, v13
	v_lshrrev_b16 v13, 1, v13
	s_delay_alu instid0(VALU_DEP_1) | instskip(NEXT) | instid1(VALU_DEP_1)
	v_or_b32_e32 v13, v13, v14
	v_cmp_gt_u16_e32 vcc_lo, 0x199a, v13
	s_or_not1_b32 s11, vcc_lo, exec_lo
; %bb.15:
	s_or_b32 exec_lo, exec_lo, s12
	s_delay_alu instid0(SALU_CYCLE_1)
	s_mov_b32 s12, exec_lo
	v_cmpx_ne_u16_e64 v7, v2
; %bb.16:
	v_mad_u16 v13, 0xcccd, v1, 0xcccd
	s_delay_alu instid0(VALU_DEP_1) | instskip(SKIP_1) | instid1(VALU_DEP_1)
	v_lshlrev_b16 v14, 15, v13
	v_lshrrev_b16 v13, 1, v13
	v_or_b32_e32 v13, v13, v14
	s_delay_alu instid0(VALU_DEP_1)
	v_cmp_gt_u16_e32 vcc_lo, 0x199a, v13
	s_or_not1_b32 s10, vcc_lo, exec_lo
; %bb.17:
	s_or_b32 exec_lo, exec_lo, s12
	s_delay_alu instid0(SALU_CYCLE_1)
	s_mov_b32 s12, exec_lo
	s_wait_loadcnt_dscnt 0x0
	s_barrier_signal -1
	s_barrier_wait -1
	v_cmpx_ne_u32_e32 0, v0
; %bb.18:
	v_add_nc_u32_e32 v12, -2, v6
	ds_load_u16 v12, v12
; %bb.19:
	s_or_b32 exec_lo, exec_lo, s12
	s_mov_b32 s12, -1
	s_mov_b32 s13, exec_lo
	s_wait_dscnt 0x0
	v_cmpx_ne_u16_e64 v2, v12
; %bb.20:
	v_mul_lo_u16 v12, 0xcccd, v1
	s_delay_alu instid0(VALU_DEP_1) | instskip(SKIP_1) | instid1(VALU_DEP_1)
	v_lshlrev_b16 v13, 15, v12
	v_lshrrev_b16 v12, 1, v12
	v_or_b32_e32 v12, v12, v13
	s_delay_alu instid0(VALU_DEP_1)
	v_cmp_gt_u16_e32 vcc_lo, 0x199a, v12
	s_or_not1_b32 s12, vcc_lo, exec_lo
; %bb.21:
	s_or_b32 exec_lo, exec_lo, s13
	v_cndmask_b32_e64 v14, 0, 1, s9
	v_cndmask_b32_e64 v16, 0, 1, s6
	;; [unrolled: 1-line block ×7, first 2 shown]
	v_lshlrev_b16 v14, 8, v14
	v_lshlrev_b16 v16, 8, v16
	;; [unrolled: 1-line block ×3, first 2 shown]
	v_cndmask_b32_e64 v19, 0, 1, s12
	v_lshlrev_b16 v12, 8, v12
	v_or_b32_e32 v13, v13, v14
	v_or_b32_e32 v14, v15, v16
	;; [unrolled: 1-line block ×3, first 2 shown]
	s_delay_alu instid0(VALU_DEP_2) | instskip(NEXT) | instid1(VALU_DEP_2)
	v_and_b32_e32 v16, 0xffff, v14
	v_dual_lshlrev_b32 v15, 16, v15 :: v_dual_bitop2_b32 v12, v19, v12 bitop3:0x54
	v_lshlrev_b32_e32 v13, 16, v13
	v_cndmask_b32_e64 v14, 0, 1, s0
	s_delay_alu instid0(VALU_DEP_3) | instskip(NEXT) | instid1(VALU_DEP_1)
	v_and_b32_e32 v12, 0xffff, v12
	v_or_b32_e32 v13, v12, v13
	v_or_b32_e32 v12, v16, v15
	s_branch .LBB0_44
.LBB0_22:
                                        ; implicit-def: $vgpr14
                                        ; implicit-def: $vgpr12
                                        ; implicit-def: $vgpr13
	s_cbranch_execz .LBB0_44
; %bb.23:
	s_mov_b32 s1, -1
	s_mov_b32 s0, -1
	s_mov_b32 s6, exec_lo
	ds_store_b16 v6, v11
	v_cmpx_ne_u16_e64 v11, v10
; %bb.24:
	s_movk_i32 s0, 0xcccd
	s_delay_alu instid0(SALU_CYCLE_1) | instskip(NEXT) | instid1(VALU_DEP_1)
	v_mad_u16 v11, v1, s0, 0x6668
	v_lshlrev_b16 v12, 15, v11
	v_lshrrev_b16 v11, 1, v11
	s_delay_alu instid0(VALU_DEP_1) | instskip(NEXT) | instid1(VALU_DEP_1)
	v_or_b32_e32 v11, v11, v12
	v_cmp_gt_u16_e32 vcc_lo, 0x199a, v11
	s_or_not1_b32 s0, vcc_lo, exec_lo
; %bb.25:
	s_or_b32 exec_lo, exec_lo, s6
	s_delay_alu instid0(SALU_CYCLE_1)
	s_mov_b32 s6, exec_lo
	v_cmpx_ne_u16_e64 v10, v5
; %bb.26:
	s_movk_i32 s1, 0xcccd
	s_delay_alu instid0(SALU_CYCLE_1) | instskip(NEXT) | instid1(VALU_DEP_1)
	v_mad_u16 v10, v1, s1, 0x999b
	v_lshlrev_b16 v11, 15, v10
	v_lshrrev_b16 v10, 1, v10
	s_delay_alu instid0(VALU_DEP_1) | instskip(NEXT) | instid1(VALU_DEP_1)
	v_or_b32_e32 v10, v10, v11
	v_cmp_gt_u16_e32 vcc_lo, 0x199a, v10
	s_or_not1_b32 s1, vcc_lo, exec_lo
; %bb.27:
	s_or_b32 exec_lo, exec_lo, s6
	s_mov_b32 s7, -1
	s_mov_b32 s6, -1
	s_mov_b32 s8, exec_lo
	v_cmpx_ne_u16_e64 v5, v9
; %bb.28:
	s_movk_i32 s6, 0xcccd
	s_delay_alu instid0(SALU_CYCLE_1) | instskip(NEXT) | instid1(VALU_DEP_1)
	v_mad_u16 v5, v1, s6, 0xccce
	v_lshlrev_b16 v10, 15, v5
	v_lshrrev_b16 v5, 1, v5
	s_delay_alu instid0(VALU_DEP_1) | instskip(NEXT) | instid1(VALU_DEP_1)
	v_or_b32_e32 v5, v5, v10
	v_cmp_gt_u16_e32 vcc_lo, 0x199a, v5
	s_or_not1_b32 s6, vcc_lo, exec_lo
; %bb.29:
	s_or_b32 exec_lo, exec_lo, s8
	s_delay_alu instid0(SALU_CYCLE_1)
	s_mov_b32 s8, exec_lo
	v_cmpx_ne_u16_e64 v9, v4
; %bb.30:
	v_mad_u16 v5, 0xcccd, v1, 1
	s_delay_alu instid0(VALU_DEP_1) | instskip(SKIP_1) | instid1(VALU_DEP_1)
	v_lshlrev_b16 v9, 15, v5
	v_lshrrev_b16 v5, 1, v5
	v_or_b32_e32 v5, v5, v9
	s_delay_alu instid0(VALU_DEP_1)
	v_cmp_gt_u16_e32 vcc_lo, 0x199a, v5
	s_or_not1_b32 s7, vcc_lo, exec_lo
; %bb.31:
	s_or_b32 exec_lo, exec_lo, s8
	s_mov_b32 s9, -1
	s_mov_b32 s8, -1
	s_mov_b32 s10, exec_lo
	v_cmpx_ne_u16_e64 v4, v8
; %bb.32:
	s_movk_i32 s8, 0xcccd
	s_delay_alu instid0(SALU_CYCLE_1) | instskip(NEXT) | instid1(VALU_DEP_1)
	v_mad_u16 v4, v1, s8, 0x3334
	v_lshlrev_b16 v5, 15, v4
	v_lshrrev_b16 v4, 1, v4
	s_delay_alu instid0(VALU_DEP_1) | instskip(NEXT) | instid1(VALU_DEP_1)
	v_or_b32_e32 v4, v4, v5
	v_cmp_gt_u16_e32 vcc_lo, 0x199a, v4
	s_or_not1_b32 s8, vcc_lo, exec_lo
; %bb.33:
	s_or_b32 exec_lo, exec_lo, s10
	s_delay_alu instid0(SALU_CYCLE_1)
	s_mov_b32 s10, exec_lo
	v_cmpx_ne_u16_e64 v8, v3
; %bb.34:
	s_movk_i32 s9, 0xcccd
	s_delay_alu instid0(SALU_CYCLE_1) | instskip(NEXT) | instid1(VALU_DEP_1)
	v_mad_u16 v4, v1, s9, 0x6667
	v_lshlrev_b16 v5, 15, v4
	v_lshrrev_b16 v4, 1, v4
	s_delay_alu instid0(VALU_DEP_1) | instskip(NEXT) | instid1(VALU_DEP_1)
	v_or_b32_e32 v4, v4, v5
	v_cmp_gt_u16_e32 vcc_lo, 0x199a, v4
	s_or_not1_b32 s9, vcc_lo, exec_lo
; %bb.35:
	s_or_b32 exec_lo, exec_lo, s10
	s_mov_b32 s10, -1
	s_mov_b32 s11, -1
	s_mov_b32 s12, exec_lo
	v_cmpx_ne_u16_e64 v3, v7
; %bb.36:
	s_movk_i32 s11, 0xcccd
	s_delay_alu instid0(SALU_CYCLE_1) | instskip(NEXT) | instid1(VALU_DEP_1)
	v_mad_u16 v3, v1, s11, 0x999a
	v_lshlrev_b16 v4, 15, v3
	v_lshrrev_b16 v3, 1, v3
	s_delay_alu instid0(VALU_DEP_1) | instskip(NEXT) | instid1(VALU_DEP_1)
	v_or_b32_e32 v3, v3, v4
	v_cmp_gt_u16_e32 vcc_lo, 0x199a, v3
	s_or_not1_b32 s11, vcc_lo, exec_lo
; %bb.37:
	s_or_b32 exec_lo, exec_lo, s12
	s_delay_alu instid0(SALU_CYCLE_1)
	s_mov_b32 s12, exec_lo
	v_cmpx_ne_u16_e64 v7, v2
; %bb.38:
	v_mad_u16 v3, 0xcccd, v1, 0xcccd
	s_delay_alu instid0(VALU_DEP_1) | instskip(SKIP_1) | instid1(VALU_DEP_1)
	v_lshlrev_b16 v4, 15, v3
	v_lshrrev_b16 v3, 1, v3
	v_or_b32_e32 v3, v3, v4
	s_delay_alu instid0(VALU_DEP_1)
	v_cmp_gt_u16_e32 vcc_lo, 0x199a, v3
	s_or_not1_b32 s10, vcc_lo, exec_lo
; %bb.39:
	s_or_b32 exec_lo, exec_lo, s12
	v_cndmask_b32_e64 v4, 0, 1, s9
	v_cndmask_b32_e64 v8, 0, 1, s7
	v_cndmask_b32_e64 v9, 0, 1, s1
	v_cndmask_b32_e64 v3, 0, 1, s11
	v_cndmask_b32_e64 v5, 0, 1, s10
	v_cndmask_b32_e64 v7, 0, 1, s8
	v_cndmask_b32_e64 v10, 0, 1, s6
	v_lshlrev_b16 v4, 8, v4
	v_lshlrev_b16 v8, 8, v8
	;; [unrolled: 1-line block ×4, first 2 shown]
	s_mov_b32 s1, exec_lo
	v_or_b32_e32 v3, v3, v4
	v_or_b32_e32 v4, v7, v8
	;; [unrolled: 1-line block ×3, first 2 shown]
	s_wait_dscnt 0x0
	s_barrier_signal -1
	s_barrier_wait -1
	v_and_b32_e32 v4, 0xffff, v4
	v_dual_lshlrev_b32 v7, 16, v7 :: v_dual_bitop2_b32 v5, 1, v5 bitop3:0x54
	v_lshlrev_b32_e32 v3, 16, v3
	s_delay_alu instid0(VALU_DEP_2) | instskip(NEXT) | instid1(VALU_DEP_3)
	v_or_b32_e32 v12, v4, v7
	v_and_b32_e32 v5, 0xffff, v5
	s_delay_alu instid0(VALU_DEP_1)
	v_or_b32_e32 v13, v5, v3
	v_cmpx_ne_u32_e32 0, v0
	s_cbranch_execz .LBB0_43
; %bb.40:
	v_add_nc_u32_e32 v0, -2, v6
	s_mov_b32 s6, -1
	s_mov_b32 s7, exec_lo
	ds_load_u16 v0, v0
	s_wait_dscnt 0x0
	v_cmpx_ne_u16_e64 v2, v0
; %bb.41:
	v_mul_lo_u16 v0, 0xcccd, v1
	s_delay_alu instid0(VALU_DEP_1) | instskip(SKIP_1) | instid1(VALU_DEP_1)
	v_lshlrev_b16 v2, 15, v0
	v_lshrrev_b16 v0, 1, v0
	v_or_b32_e32 v0, v0, v2
	s_delay_alu instid0(VALU_DEP_1)
	v_cmp_gt_u16_e32 vcc_lo, 0x199a, v0
	s_or_not1_b32 s6, vcc_lo, exec_lo
; %bb.42:
	s_or_b32 exec_lo, exec_lo, s7
	v_dual_lshrrev_b32 v0, 24, v13 :: v_dual_lshrrev_b32 v2, 8, v13
	v_cndmask_b32_e64 v3, 0, 1, s6
	s_delay_alu instid0(VALU_DEP_2) | instskip(NEXT) | instid1(VALU_DEP_3)
	v_lshlrev_b16 v0, 8, v0
	v_lshlrev_b16 v2, 8, v2
	s_delay_alu instid0(VALU_DEP_1) | instskip(NEXT) | instid1(VALU_DEP_1)
	v_dual_lshrrev_b32 v4, 16, v13 :: v_dual_bitop2_b32 v2, v3, v2 bitop3:0x54
	v_bitop3_b16 v0, v4, v0, 0xff bitop3:0xec
	s_delay_alu instid0(VALU_DEP_2) | instskip(NEXT) | instid1(VALU_DEP_2)
	v_and_b32_e32 v2, 0xffff, v2
	v_lshlrev_b32_e32 v0, 16, v0
	s_delay_alu instid0(VALU_DEP_1)
	v_or_b32_e32 v13, v2, v0
.LBB0_43:
	s_or_b32 exec_lo, exec_lo, s1
	v_cndmask_b32_e64 v14, 0, 1, s0
.LBB0_44:
	v_dual_mov_b32 v3, 0 :: v_dual_lshlrev_b32 v0, 3, v1
	s_delay_alu instid0(VALU_DEP_3) | instskip(SKIP_2) | instid1(VALU_DEP_3)
	v_and_b32_e32 v2, 0xff, v13
	v_bfe_u32 v4, v13, 8, 8
	s_lshl_b64 s[0:1], s[4:5], 3
	v_mov_b32_e32 v5, v3
	s_add_nc_u64 s[0:1], s[2:3], s[0:1]
	global_store_b128 v0, v[2:5], s[0:1]
	s_wait_xcnt 0x0
	v_lshrrev_b32_e32 v4, 24, v13
	v_bfe_u32 v2, v13, 16, 8
	global_store_b128 v0, v[2:5], s[0:1] offset:16
	s_wait_xcnt 0x0
	v_and_b32_e32 v2, 0xff, v12
	v_bfe_u32 v4, v12, 8, 8
	global_store_b128 v0, v[2:5], s[0:1] offset:32
	s_wait_xcnt 0x0
	v_lshrrev_b32_e32 v4, 24, v12
	v_bfe_u32 v2, v12, 16, 8
	global_store_b128 v0, v[2:5], s[0:1] offset:48
	s_wait_xcnt 0x0
	v_and_b32_e32 v2, 0xff, v14
	global_store_b64 v1, v[2:3], s[0:1] offset:64 scale_offset
	s_endpgm
	.section	.rodata,"a",@progbits
	.p2align	6, 0x0
	.amdhsa_kernel _Z17flag_heads_kernelIsb15custom_flag_op1IsELj234ELj9EEvPT_Px
		.amdhsa_group_segment_fixed_size 936
		.amdhsa_private_segment_fixed_size 0
		.amdhsa_kernarg_size 16
		.amdhsa_user_sgpr_count 2
		.amdhsa_user_sgpr_dispatch_ptr 0
		.amdhsa_user_sgpr_queue_ptr 0
		.amdhsa_user_sgpr_kernarg_segment_ptr 1
		.amdhsa_user_sgpr_dispatch_id 0
		.amdhsa_user_sgpr_kernarg_preload_length 0
		.amdhsa_user_sgpr_kernarg_preload_offset 0
		.amdhsa_user_sgpr_private_segment_size 0
		.amdhsa_wavefront_size32 1
		.amdhsa_uses_dynamic_stack 0
		.amdhsa_enable_private_segment 0
		.amdhsa_system_sgpr_workgroup_id_x 1
		.amdhsa_system_sgpr_workgroup_id_y 0
		.amdhsa_system_sgpr_workgroup_id_z 0
		.amdhsa_system_sgpr_workgroup_info 0
		.amdhsa_system_vgpr_workitem_id 0
		.amdhsa_next_free_vgpr 20
		.amdhsa_next_free_sgpr 14
		.amdhsa_named_barrier_count 0
		.amdhsa_reserve_vcc 1
		.amdhsa_float_round_mode_32 0
		.amdhsa_float_round_mode_16_64 0
		.amdhsa_float_denorm_mode_32 3
		.amdhsa_float_denorm_mode_16_64 3
		.amdhsa_fp16_overflow 0
		.amdhsa_memory_ordered 1
		.amdhsa_forward_progress 1
		.amdhsa_inst_pref_size 18
		.amdhsa_round_robin_scheduling 0
		.amdhsa_exception_fp_ieee_invalid_op 0
		.amdhsa_exception_fp_denorm_src 0
		.amdhsa_exception_fp_ieee_div_zero 0
		.amdhsa_exception_fp_ieee_overflow 0
		.amdhsa_exception_fp_ieee_underflow 0
		.amdhsa_exception_fp_ieee_inexact 0
		.amdhsa_exception_int_div_zero 0
	.end_amdhsa_kernel
	.section	.text._Z17flag_heads_kernelIsb15custom_flag_op1IsELj234ELj9EEvPT_Px,"axG",@progbits,_Z17flag_heads_kernelIsb15custom_flag_op1IsELj234ELj9EEvPT_Px,comdat
.Lfunc_end0:
	.size	_Z17flag_heads_kernelIsb15custom_flag_op1IsELj234ELj9EEvPT_Px, .Lfunc_end0-_Z17flag_heads_kernelIsb15custom_flag_op1IsELj234ELj9EEvPT_Px
                                        ; -- End function
	.set _Z17flag_heads_kernelIsb15custom_flag_op1IsELj234ELj9EEvPT_Px.num_vgpr, 20
	.set _Z17flag_heads_kernelIsb15custom_flag_op1IsELj234ELj9EEvPT_Px.num_agpr, 0
	.set _Z17flag_heads_kernelIsb15custom_flag_op1IsELj234ELj9EEvPT_Px.numbered_sgpr, 14
	.set _Z17flag_heads_kernelIsb15custom_flag_op1IsELj234ELj9EEvPT_Px.num_named_barrier, 0
	.set _Z17flag_heads_kernelIsb15custom_flag_op1IsELj234ELj9EEvPT_Px.private_seg_size, 0
	.set _Z17flag_heads_kernelIsb15custom_flag_op1IsELj234ELj9EEvPT_Px.uses_vcc, 1
	.set _Z17flag_heads_kernelIsb15custom_flag_op1IsELj234ELj9EEvPT_Px.uses_flat_scratch, 0
	.set _Z17flag_heads_kernelIsb15custom_flag_op1IsELj234ELj9EEvPT_Px.has_dyn_sized_stack, 0
	.set _Z17flag_heads_kernelIsb15custom_flag_op1IsELj234ELj9EEvPT_Px.has_recursion, 0
	.set _Z17flag_heads_kernelIsb15custom_flag_op1IsELj234ELj9EEvPT_Px.has_indirect_call, 0
	.section	.AMDGPU.csdata,"",@progbits
; Kernel info:
; codeLenInByte = 2244
; TotalNumSgprs: 16
; NumVgprs: 20
; ScratchSize: 0
; MemoryBound: 0
; FloatMode: 240
; IeeeMode: 1
; LDSByteSize: 936 bytes/workgroup (compile time only)
; SGPRBlocks: 0
; VGPRBlocks: 1
; NumSGPRsForWavesPerEU: 16
; NumVGPRsForWavesPerEU: 20
; NamedBarCnt: 0
; Occupancy: 16
; WaveLimiterHint : 0
; COMPUTE_PGM_RSRC2:SCRATCH_EN: 0
; COMPUTE_PGM_RSRC2:USER_SGPR: 2
; COMPUTE_PGM_RSRC2:TRAP_HANDLER: 0
; COMPUTE_PGM_RSRC2:TGID_X_EN: 1
; COMPUTE_PGM_RSRC2:TGID_Y_EN: 0
; COMPUTE_PGM_RSRC2:TGID_Z_EN: 0
; COMPUTE_PGM_RSRC2:TIDIG_COMP_CNT: 0
	.section	.text._Z17flag_heads_kernelItiN10test_utils7greaterELj100ELj3EEvPT_Px,"axG",@progbits,_Z17flag_heads_kernelItiN10test_utils7greaterELj100ELj3EEvPT_Px,comdat
	.protected	_Z17flag_heads_kernelItiN10test_utils7greaterELj100ELj3EEvPT_Px ; -- Begin function _Z17flag_heads_kernelItiN10test_utils7greaterELj100ELj3EEvPT_Px
	.globl	_Z17flag_heads_kernelItiN10test_utils7greaterELj100ELj3EEvPT_Px
	.p2align	8
	.type	_Z17flag_heads_kernelItiN10test_utils7greaterELj100ELj3EEvPT_Px,@function
_Z17flag_heads_kernelItiN10test_utils7greaterELj100ELj3EEvPT_Px: ; @_Z17flag_heads_kernelItiN10test_utils7greaterELj100ELj3EEvPT_Px
; %bb.0:
	s_load_b128 s[0:3], s[0:1], 0x0
	s_bfe_u32 s4, ttmp6, 0x4000c
	s_and_b32 s5, ttmp6, 15
	s_add_co_i32 s4, s4, 1
	s_getreg_b32 s6, hwreg(HW_REG_IB_STS2, 6, 4)
	s_mul_i32 s4, ttmp9, s4
	v_mul_u32_u24_e32 v1, 3, v0
	s_add_co_i32 s5, s5, s4
	s_cmp_eq_u32 s6, 0
	v_lshlrev_b32_e32 v5, 1, v0
	s_cselect_b32 s8, ttmp9, s5
	s_mov_b32 s5, 0
	s_mul_i32 s4, s8, 0x12c
	v_lshlrev_b32_e32 v2, 1, v1
	s_lshl_b64 s[6:7], s[4:5], 1
	s_bitcmp0_b32 s8, 0
	v_cmp_ne_u32_e32 vcc_lo, 0, v0
	s_wait_kmcnt 0x0
	s_add_nc_u64 s[6:7], s[0:1], s[6:7]
	s_clause 0x1
	global_load_b32 v8, v2, s[6:7] offset:2
	global_load_b32 v3, v2, s[6:7]
	s_wait_loadcnt 0x1
	v_lshrrev_b32_e32 v7, 16, v8
	s_cbranch_scc1 .LBB1_4
; %bb.1:
	s_wait_xcnt 0x0
	s_add_co_i32 s6, s4, -1
	ds_store_b16 v5, v7
	v_mov_b32_e32 v2, s6
	global_load_u16 v2, v2, s[0:1] scale_offset
	s_wait_loadcnt_dscnt 0x0
	s_barrier_signal -1
	s_barrier_wait -1
	s_and_saveexec_b32 s0, vcc_lo
; %bb.2:
	v_add_nc_u32_e32 v2, -2, v5
	ds_load_u16 v2, v2
; %bb.3:
	s_or_b32 exec_lo, exec_lo, s0
	v_cmp_gt_u16_e32 vcc_lo, v7, v8
	v_cndmask_b32_e64 v6, 0, 1, vcc_lo
	v_cmp_gt_u16_e32 vcc_lo, v8, v3
	v_cndmask_b32_e64 v4, 0, 1, vcc_lo
	s_wait_dscnt 0x0
	v_cmp_gt_u16_e32 vcc_lo, v3, v2
	v_cndmask_b32_e64 v2, 0, 1, vcc_lo
	s_branch .LBB1_8
.LBB1_4:
                                        ; implicit-def: $vgpr6
                                        ; implicit-def: $vgpr4
	s_cbranch_execz .LBB1_8
; %bb.5:
	s_wait_loadcnt 0x0
	v_lshrrev_b32_e32 v2, 16, v3
	v_cmp_gt_u16_e32 vcc_lo, v8, v3
	s_mov_b32 s0, exec_lo
	ds_store_b16 v5, v7
	s_wait_dscnt 0x0
	s_barrier_signal -1
	v_cndmask_b32_e64 v4, 0, 1, vcc_lo
	v_cmp_gt_u16_e32 vcc_lo, v7, v2
	v_mov_b32_e32 v2, 1
	s_barrier_wait -1
	v_cndmask_b32_e64 v6, 0, 1, vcc_lo
	v_cmpx_ne_u32_e32 0, v0
	s_cbranch_execz .LBB1_7
; %bb.6:
	v_add_nc_u32_e32 v0, -2, v5
	ds_load_u16 v0, v0
	s_wait_dscnt 0x0
	v_cmp_gt_u16_e32 vcc_lo, v3, v0
	v_cndmask_b32_e64 v2, 0, 1, vcc_lo
.LBB1_7:
	s_or_b32 exec_lo, exec_lo, s0
.LBB1_8:
	s_wait_loadcnt 0x0
	s_delay_alu instid0(VALU_DEP_1) | instskip(SKIP_2) | instid1(SALU_CYCLE_1)
	v_dual_lshlrev_b32 v0, 3, v1 :: v_dual_ashrrev_i32 v3, 31, v2
	v_dual_ashrrev_i32 v5, 31, v4 :: v_dual_ashrrev_i32 v7, 31, v6
	s_lshl_b64 s[0:1], s[4:5], 3
	s_add_nc_u64 s[0:1], s[2:3], s[0:1]
	s_clause 0x1
	global_store_b128 v0, v[2:5], s[0:1]
	global_store_b64 v1, v[6:7], s[0:1] offset:16 scale_offset
	s_endpgm
	.section	.rodata,"a",@progbits
	.p2align	6, 0x0
	.amdhsa_kernel _Z17flag_heads_kernelItiN10test_utils7greaterELj100ELj3EEvPT_Px
		.amdhsa_group_segment_fixed_size 400
		.amdhsa_private_segment_fixed_size 0
		.amdhsa_kernarg_size 16
		.amdhsa_user_sgpr_count 2
		.amdhsa_user_sgpr_dispatch_ptr 0
		.amdhsa_user_sgpr_queue_ptr 0
		.amdhsa_user_sgpr_kernarg_segment_ptr 1
		.amdhsa_user_sgpr_dispatch_id 0
		.amdhsa_user_sgpr_kernarg_preload_length 0
		.amdhsa_user_sgpr_kernarg_preload_offset 0
		.amdhsa_user_sgpr_private_segment_size 0
		.amdhsa_wavefront_size32 1
		.amdhsa_uses_dynamic_stack 0
		.amdhsa_enable_private_segment 0
		.amdhsa_system_sgpr_workgroup_id_x 1
		.amdhsa_system_sgpr_workgroup_id_y 0
		.amdhsa_system_sgpr_workgroup_id_z 0
		.amdhsa_system_sgpr_workgroup_info 0
		.amdhsa_system_vgpr_workitem_id 0
		.amdhsa_next_free_vgpr 9
		.amdhsa_next_free_sgpr 9
		.amdhsa_named_barrier_count 0
		.amdhsa_reserve_vcc 1
		.amdhsa_float_round_mode_32 0
		.amdhsa_float_round_mode_16_64 0
		.amdhsa_float_denorm_mode_32 3
		.amdhsa_float_denorm_mode_16_64 3
		.amdhsa_fp16_overflow 0
		.amdhsa_memory_ordered 1
		.amdhsa_forward_progress 1
		.amdhsa_inst_pref_size 4
		.amdhsa_round_robin_scheduling 0
		.amdhsa_exception_fp_ieee_invalid_op 0
		.amdhsa_exception_fp_denorm_src 0
		.amdhsa_exception_fp_ieee_div_zero 0
		.amdhsa_exception_fp_ieee_overflow 0
		.amdhsa_exception_fp_ieee_underflow 0
		.amdhsa_exception_fp_ieee_inexact 0
		.amdhsa_exception_int_div_zero 0
	.end_amdhsa_kernel
	.section	.text._Z17flag_heads_kernelItiN10test_utils7greaterELj100ELj3EEvPT_Px,"axG",@progbits,_Z17flag_heads_kernelItiN10test_utils7greaterELj100ELj3EEvPT_Px,comdat
.Lfunc_end1:
	.size	_Z17flag_heads_kernelItiN10test_utils7greaterELj100ELj3EEvPT_Px, .Lfunc_end1-_Z17flag_heads_kernelItiN10test_utils7greaterELj100ELj3EEvPT_Px
                                        ; -- End function
	.set _Z17flag_heads_kernelItiN10test_utils7greaterELj100ELj3EEvPT_Px.num_vgpr, 9
	.set _Z17flag_heads_kernelItiN10test_utils7greaterELj100ELj3EEvPT_Px.num_agpr, 0
	.set _Z17flag_heads_kernelItiN10test_utils7greaterELj100ELj3EEvPT_Px.numbered_sgpr, 9
	.set _Z17flag_heads_kernelItiN10test_utils7greaterELj100ELj3EEvPT_Px.num_named_barrier, 0
	.set _Z17flag_heads_kernelItiN10test_utils7greaterELj100ELj3EEvPT_Px.private_seg_size, 0
	.set _Z17flag_heads_kernelItiN10test_utils7greaterELj100ELj3EEvPT_Px.uses_vcc, 1
	.set _Z17flag_heads_kernelItiN10test_utils7greaterELj100ELj3EEvPT_Px.uses_flat_scratch, 0
	.set _Z17flag_heads_kernelItiN10test_utils7greaterELj100ELj3EEvPT_Px.has_dyn_sized_stack, 0
	.set _Z17flag_heads_kernelItiN10test_utils7greaterELj100ELj3EEvPT_Px.has_recursion, 0
	.set _Z17flag_heads_kernelItiN10test_utils7greaterELj100ELj3EEvPT_Px.has_indirect_call, 0
	.section	.AMDGPU.csdata,"",@progbits
; Kernel info:
; codeLenInByte = 412
; TotalNumSgprs: 11
; NumVgprs: 9
; ScratchSize: 0
; MemoryBound: 0
; FloatMode: 240
; IeeeMode: 1
; LDSByteSize: 400 bytes/workgroup (compile time only)
; SGPRBlocks: 0
; VGPRBlocks: 0
; NumSGPRsForWavesPerEU: 11
; NumVGPRsForWavesPerEU: 9
; NamedBarCnt: 0
; Occupancy: 16
; WaveLimiterHint : 0
; COMPUTE_PGM_RSRC2:SCRATCH_EN: 0
; COMPUTE_PGM_RSRC2:USER_SGPR: 2
; COMPUTE_PGM_RSRC2:TRAP_HANDLER: 0
; COMPUTE_PGM_RSRC2:TGID_X_EN: 1
; COMPUTE_PGM_RSRC2:TGID_Y_EN: 0
; COMPUTE_PGM_RSRC2:TGID_Z_EN: 0
; COMPUTE_PGM_RSRC2:TIDIG_COMP_CNT: 0
	.section	.text._Z17flag_heads_kernelI12hip_bfloat16iN10test_utils7greaterELj37ELj3EEvPT_Px,"axG",@progbits,_Z17flag_heads_kernelI12hip_bfloat16iN10test_utils7greaterELj37ELj3EEvPT_Px,comdat
	.protected	_Z17flag_heads_kernelI12hip_bfloat16iN10test_utils7greaterELj37ELj3EEvPT_Px ; -- Begin function _Z17flag_heads_kernelI12hip_bfloat16iN10test_utils7greaterELj37ELj3EEvPT_Px
	.globl	_Z17flag_heads_kernelI12hip_bfloat16iN10test_utils7greaterELj37ELj3EEvPT_Px
	.p2align	8
	.type	_Z17flag_heads_kernelI12hip_bfloat16iN10test_utils7greaterELj37ELj3EEvPT_Px,@function
_Z17flag_heads_kernelI12hip_bfloat16iN10test_utils7greaterELj37ELj3EEvPT_Px: ; @_Z17flag_heads_kernelI12hip_bfloat16iN10test_utils7greaterELj37ELj3EEvPT_Px
; %bb.0:
	s_load_b128 s[0:3], s[0:1], 0x0
	s_bfe_u32 s4, ttmp6, 0x4000c
	s_and_b32 s5, ttmp6, 15
	s_add_co_i32 s4, s4, 1
	s_getreg_b32 s6, hwreg(HW_REG_IB_STS2, 6, 4)
	s_mul_i32 s4, ttmp9, s4
	v_mul_u32_u24_e32 v1, 3, v0
	s_add_co_i32 s5, s5, s4
	s_cmp_eq_u32 s6, 0
	v_lshlrev_b32_e32 v3, 1, v0
	s_cselect_b32 s8, ttmp9, s5
	s_mov_b32 s5, 0
	s_mul_i32 s4, s8, 0x6f
	v_lshlrev_b32_e32 v2, 1, v1
	s_lshl_b64 s[6:7], s[4:5], 1
	s_bitcmp0_b32 s8, 0
	v_cmp_ne_u32_e32 vcc_lo, 0, v0
	s_wait_kmcnt 0x0
	s_add_nc_u64 s[6:7], s[0:1], s[6:7]
	s_clause 0x1
	global_load_b32 v5, v2, s[6:7]
	global_load_b32 v7, v2, s[6:7] offset:2
	s_cbranch_scc1 .LBB2_4
; %bb.1:
	s_wait_xcnt 0x0
	s_add_co_i32 s6, s4, -1
	s_wait_loadcnt 0x0
	ds_store_b16_d16_hi v3, v7
	v_mov_b32_e32 v2, s6
	global_load_u16 v2, v2, s[0:1] scale_offset
	s_wait_loadcnt_dscnt 0x0
	s_barrier_signal -1
	s_barrier_wait -1
	s_and_saveexec_b32 s0, vcc_lo
; %bb.2:
	v_add_nc_u32_e32 v2, -2, v3
	ds_load_u16 v2, v2
; %bb.3:
	s_or_b32 exec_lo, exec_lo, s0
	s_wait_dscnt 0x0
	v_dual_lshlrev_b32 v4, 16, v5 :: v_dual_lshlrev_b32 v2, 16, v2
	v_and_b32_e32 v6, 0xffff0000, v7
	v_and_b32_e32 v8, 0xffff0000, v5
	s_delay_alu instid0(VALU_DEP_3) | instskip(SKIP_1) | instid1(VALU_DEP_3)
	v_cmp_gt_f32_e32 vcc_lo, v4, v2
	v_cndmask_b32_e64 v2, 0, 1, vcc_lo
	v_cmp_lt_f32_e32 vcc_lo, v8, v6
	v_cndmask_b32_e64 v6, 0, 1, vcc_lo
	v_cmp_lt_f32_e32 vcc_lo, v4, v8
	v_cndmask_b32_e64 v4, 0, 1, vcc_lo
	s_branch .LBB2_8
.LBB2_4:
                                        ; implicit-def: $vgpr6
                                        ; implicit-def: $vgpr4
	s_cbranch_execz .LBB2_8
; %bb.5:
	s_wait_loadcnt 0x0
	v_and_b32_e32 v4, 0xffff0000, v7
	v_and_b32_e32 v6, 0xffff0000, v5
	v_dual_lshrrev_b32 v2, 16, v7 :: v_dual_lshlrev_b32 v7, 16, v7
	v_lshlrev_b32_e32 v5, 16, v5
	s_mov_b32 s0, exec_lo
	s_delay_alu instid0(VALU_DEP_3)
	v_cmp_lt_f32_e32 vcc_lo, v6, v4
	ds_store_b16 v3, v2
	v_mov_b32_e32 v2, 1
	s_wait_dscnt 0x0
	s_barrier_signal -1
	v_cndmask_b32_e64 v6, 0, 1, vcc_lo
	v_cmp_lt_f32_e32 vcc_lo, v5, v7
	s_barrier_wait -1
	v_cndmask_b32_e64 v4, 0, 1, vcc_lo
	v_cmpx_ne_u32_e32 0, v0
	s_cbranch_execz .LBB2_7
; %bb.6:
	v_add_nc_u32_e32 v0, -2, v3
	ds_load_u16 v0, v0
	s_wait_dscnt 0x0
	v_lshlrev_b32_e32 v0, 16, v0
	s_delay_alu instid0(VALU_DEP_1)
	v_cmp_gt_f32_e32 vcc_lo, v5, v0
	v_cndmask_b32_e64 v2, 0, 1, vcc_lo
.LBB2_7:
	s_or_b32 exec_lo, exec_lo, s0
.LBB2_8:
	s_delay_alu instid0(VALU_DEP_1) | instskip(SKIP_1) | instid1(VALU_DEP_2)
	v_dual_lshlrev_b32 v0, 3, v1 :: v_dual_ashrrev_i32 v3, 31, v2
	s_wait_loadcnt 0x0
	v_dual_ashrrev_i32 v5, 31, v4 :: v_dual_ashrrev_i32 v7, 31, v6
	s_lshl_b64 s[0:1], s[4:5], 3
	s_delay_alu instid0(SALU_CYCLE_1)
	s_add_nc_u64 s[0:1], s[2:3], s[0:1]
	s_clause 0x1
	global_store_b128 v0, v[2:5], s[0:1]
	global_store_b64 v1, v[6:7], s[0:1] offset:16 scale_offset
	s_endpgm
	.section	.rodata,"a",@progbits
	.p2align	6, 0x0
	.amdhsa_kernel _Z17flag_heads_kernelI12hip_bfloat16iN10test_utils7greaterELj37ELj3EEvPT_Px
		.amdhsa_group_segment_fixed_size 148
		.amdhsa_private_segment_fixed_size 0
		.amdhsa_kernarg_size 16
		.amdhsa_user_sgpr_count 2
		.amdhsa_user_sgpr_dispatch_ptr 0
		.amdhsa_user_sgpr_queue_ptr 0
		.amdhsa_user_sgpr_kernarg_segment_ptr 1
		.amdhsa_user_sgpr_dispatch_id 0
		.amdhsa_user_sgpr_kernarg_preload_length 0
		.amdhsa_user_sgpr_kernarg_preload_offset 0
		.amdhsa_user_sgpr_private_segment_size 0
		.amdhsa_wavefront_size32 1
		.amdhsa_uses_dynamic_stack 0
		.amdhsa_enable_private_segment 0
		.amdhsa_system_sgpr_workgroup_id_x 1
		.amdhsa_system_sgpr_workgroup_id_y 0
		.amdhsa_system_sgpr_workgroup_id_z 0
		.amdhsa_system_sgpr_workgroup_info 0
		.amdhsa_system_vgpr_workitem_id 0
		.amdhsa_next_free_vgpr 9
		.amdhsa_next_free_sgpr 9
		.amdhsa_named_barrier_count 0
		.amdhsa_reserve_vcc 1
		.amdhsa_float_round_mode_32 0
		.amdhsa_float_round_mode_16_64 0
		.amdhsa_float_denorm_mode_32 3
		.amdhsa_float_denorm_mode_16_64 3
		.amdhsa_fp16_overflow 0
		.amdhsa_memory_ordered 1
		.amdhsa_forward_progress 1
		.amdhsa_inst_pref_size 4
		.amdhsa_round_robin_scheduling 0
		.amdhsa_exception_fp_ieee_invalid_op 0
		.amdhsa_exception_fp_denorm_src 0
		.amdhsa_exception_fp_ieee_div_zero 0
		.amdhsa_exception_fp_ieee_overflow 0
		.amdhsa_exception_fp_ieee_underflow 0
		.amdhsa_exception_fp_ieee_inexact 0
		.amdhsa_exception_int_div_zero 0
	.end_amdhsa_kernel
	.section	.text._Z17flag_heads_kernelI12hip_bfloat16iN10test_utils7greaterELj37ELj3EEvPT_Px,"axG",@progbits,_Z17flag_heads_kernelI12hip_bfloat16iN10test_utils7greaterELj37ELj3EEvPT_Px,comdat
.Lfunc_end2:
	.size	_Z17flag_heads_kernelI12hip_bfloat16iN10test_utils7greaterELj37ELj3EEvPT_Px, .Lfunc_end2-_Z17flag_heads_kernelI12hip_bfloat16iN10test_utils7greaterELj37ELj3EEvPT_Px
                                        ; -- End function
	.set _Z17flag_heads_kernelI12hip_bfloat16iN10test_utils7greaterELj37ELj3EEvPT_Px.num_vgpr, 9
	.set _Z17flag_heads_kernelI12hip_bfloat16iN10test_utils7greaterELj37ELj3EEvPT_Px.num_agpr, 0
	.set _Z17flag_heads_kernelI12hip_bfloat16iN10test_utils7greaterELj37ELj3EEvPT_Px.numbered_sgpr, 9
	.set _Z17flag_heads_kernelI12hip_bfloat16iN10test_utils7greaterELj37ELj3EEvPT_Px.num_named_barrier, 0
	.set _Z17flag_heads_kernelI12hip_bfloat16iN10test_utils7greaterELj37ELj3EEvPT_Px.private_seg_size, 0
	.set _Z17flag_heads_kernelI12hip_bfloat16iN10test_utils7greaterELj37ELj3EEvPT_Px.uses_vcc, 1
	.set _Z17flag_heads_kernelI12hip_bfloat16iN10test_utils7greaterELj37ELj3EEvPT_Px.uses_flat_scratch, 0
	.set _Z17flag_heads_kernelI12hip_bfloat16iN10test_utils7greaterELj37ELj3EEvPT_Px.has_dyn_sized_stack, 0
	.set _Z17flag_heads_kernelI12hip_bfloat16iN10test_utils7greaterELj37ELj3EEvPT_Px.has_recursion, 0
	.set _Z17flag_heads_kernelI12hip_bfloat16iN10test_utils7greaterELj37ELj3EEvPT_Px.has_indirect_call, 0
	.section	.AMDGPU.csdata,"",@progbits
; Kernel info:
; codeLenInByte = 484
; TotalNumSgprs: 11
; NumVgprs: 9
; ScratchSize: 0
; MemoryBound: 0
; FloatMode: 240
; IeeeMode: 1
; LDSByteSize: 148 bytes/workgroup (compile time only)
; SGPRBlocks: 0
; VGPRBlocks: 0
; NumSGPRsForWavesPerEU: 11
; NumVGPRsForWavesPerEU: 9
; NamedBarCnt: 0
; Occupancy: 16
; WaveLimiterHint : 0
; COMPUTE_PGM_RSRC2:SCRATCH_EN: 0
; COMPUTE_PGM_RSRC2:USER_SGPR: 2
; COMPUTE_PGM_RSRC2:TRAP_HANDLER: 0
; COMPUTE_PGM_RSRC2:TGID_X_EN: 1
; COMPUTE_PGM_RSRC2:TGID_Y_EN: 0
; COMPUTE_PGM_RSRC2:TGID_Z_EN: 0
; COMPUTE_PGM_RSRC2:TIDIG_COMP_CNT: 0
	.section	.text._Z17flag_heads_kernelI6__halfiN10test_utils7greaterELj37ELj5EEvPT_Px,"axG",@progbits,_Z17flag_heads_kernelI6__halfiN10test_utils7greaterELj37ELj5EEvPT_Px,comdat
	.protected	_Z17flag_heads_kernelI6__halfiN10test_utils7greaterELj37ELj5EEvPT_Px ; -- Begin function _Z17flag_heads_kernelI6__halfiN10test_utils7greaterELj37ELj5EEvPT_Px
	.globl	_Z17flag_heads_kernelI6__halfiN10test_utils7greaterELj37ELj5EEvPT_Px
	.p2align	8
	.type	_Z17flag_heads_kernelI6__halfiN10test_utils7greaterELj37ELj5EEvPT_Px,@function
_Z17flag_heads_kernelI6__halfiN10test_utils7greaterELj37ELj5EEvPT_Px: ; @_Z17flag_heads_kernelI6__halfiN10test_utils7greaterELj37ELj5EEvPT_Px
; %bb.0:
	s_load_b128 s[4:7], s[0:1], 0x0
	s_wait_xcnt 0x0
	s_bfe_u32 s0, ttmp6, 0x4000c
	s_and_b32 s1, ttmp6, 15
	s_add_co_i32 s0, s0, 1
	s_getreg_b32 s2, hwreg(HW_REG_IB_STS2, 6, 4)
	s_mul_i32 s0, ttmp9, s0
	v_mul_u32_u24_e32 v12, 5, v0
	s_add_co_i32 s1, s1, s0
	s_cmp_eq_u32 s2, 0
	s_mov_b32 s3, 0
	s_cselect_b32 s8, ttmp9, s1
	v_lshlrev_b32_e32 v2, 1, v12
	s_mul_i32 s2, s8, 0xb9
	v_lshlrev_b32_e32 v3, 1, v0
	s_lshl_b64 s[0:1], s[2:3], 1
	s_bitcmp0_b32 s8, 0
	s_wait_kmcnt 0x0
	s_add_nc_u64 s[0:1], s[4:5], s[0:1]
	s_clause 0x1
	global_load_b64 v[10:11], v2, s[0:1] offset:2
	global_load_b32 v1, v2, s[0:1]
	s_wait_xcnt 0x0
	v_cmp_ne_u32_e64 s0, 0, v0
	s_wait_loadcnt 0x1
	v_lshrrev_b32_e32 v5, 16, v11
	s_cbranch_scc1 .LBB3_4
; %bb.1:
	s_add_co_i32 s1, s2, -1
	ds_store_b16 v3, v5
	v_mov_b32_e32 v0, s1
	global_load_u16 v0, v0, s[4:5] scale_offset
	s_wait_loadcnt_dscnt 0x0
	s_barrier_signal -1
	s_barrier_wait -1
	s_and_saveexec_b32 s1, s0
; %bb.2:
	v_add_nc_u32_e32 v0, -2, v3
	ds_load_u16 v0, v0
; %bb.3:
	s_or_b32 exec_lo, exec_lo, s1
	v_cmp_lt_f16_e32 vcc_lo, v11, v5
	v_lshrrev_b32_e32 v2, 16, v10
	v_cndmask_b32_e64 v8, 0, 1, vcc_lo
	v_cmp_gt_f16_e32 vcc_lo, v10, v1
	v_cndmask_b32_e64 v6, 0, 1, vcc_lo
	s_wait_dscnt 0x0
	v_cmp_gt_f16_e32 vcc_lo, v1, v0
	v_cndmask_b32_e64 v4, 0, 1, vcc_lo
	v_cmp_gt_f16_e32 vcc_lo, v2, v10
	v_cndmask_b32_e64 v0, 0, 1, vcc_lo
	v_cmp_gt_f16_e32 vcc_lo, v11, v2
	v_cndmask_b32_e64 v2, 0, 1, vcc_lo
	s_branch .LBB3_8
.LBB3_4:
                                        ; implicit-def: $vgpr8
                                        ; implicit-def: $vgpr2
                                        ; implicit-def: $vgpr6
	s_cbranch_execz .LBB3_8
; %bb.5:
	s_wait_loadcnt 0x0
	v_dual_lshrrev_b32 v0, 16, v10 :: v_dual_lshrrev_b32 v4, 16, v1
	v_cmp_lt_f16_e32 vcc_lo, v11, v5
	ds_store_b16 v3, v5
	s_wait_dscnt 0x0
	s_barrier_signal -1
	s_barrier_wait -1
	v_cndmask_b32_e64 v8, 0, 1, vcc_lo
	v_cmp_gt_f16_e32 vcc_lo, v11, v0
	v_cndmask_b32_e64 v2, 0, 1, vcc_lo
	v_cmp_gt_f16_e32 vcc_lo, v0, v4
	v_mov_b32_e32 v4, 1
	v_cndmask_b32_e64 v0, 0, 1, vcc_lo
	v_cmp_gt_f16_e32 vcc_lo, v10, v1
	v_cndmask_b32_e64 v6, 0, 1, vcc_lo
	s_and_saveexec_b32 s1, s0
	s_cbranch_execz .LBB3_7
; %bb.6:
	v_add_nc_u32_e32 v3, -2, v3
	ds_load_u16 v3, v3
	s_wait_dscnt 0x0
	v_cmp_gt_f16_e32 vcc_lo, v1, v3
	v_cndmask_b32_e64 v4, 0, 1, vcc_lo
.LBB3_7:
	s_or_b32 exec_lo, exec_lo, s1
.LBB3_8:
	s_delay_alu instid0(VALU_DEP_1)
	v_dual_lshlrev_b32 v10, 3, v12 :: v_dual_ashrrev_i32 v3, 31, v2
	s_wait_loadcnt 0x0
	v_ashrrev_i32_e32 v1, 31, v0
	s_lshl_b64 s[0:1], s[2:3], 3
	v_dual_ashrrev_i32 v5, 31, v4 :: v_dual_ashrrev_i32 v7, 31, v6
	v_ashrrev_i32_e32 v9, 31, v8
	s_add_nc_u64 s[0:1], s[6:7], s[0:1]
	s_clause 0x2
	global_store_b128 v10, v[0:3], s[0:1] offset:16
	global_store_b128 v10, v[4:7], s[0:1]
	global_store_b64 v12, v[8:9], s[0:1] offset:32 scale_offset
	s_endpgm
	.section	.rodata,"a",@progbits
	.p2align	6, 0x0
	.amdhsa_kernel _Z17flag_heads_kernelI6__halfiN10test_utils7greaterELj37ELj5EEvPT_Px
		.amdhsa_group_segment_fixed_size 148
		.amdhsa_private_segment_fixed_size 0
		.amdhsa_kernarg_size 16
		.amdhsa_user_sgpr_count 2
		.amdhsa_user_sgpr_dispatch_ptr 0
		.amdhsa_user_sgpr_queue_ptr 0
		.amdhsa_user_sgpr_kernarg_segment_ptr 1
		.amdhsa_user_sgpr_dispatch_id 0
		.amdhsa_user_sgpr_kernarg_preload_length 0
		.amdhsa_user_sgpr_kernarg_preload_offset 0
		.amdhsa_user_sgpr_private_segment_size 0
		.amdhsa_wavefront_size32 1
		.amdhsa_uses_dynamic_stack 0
		.amdhsa_enable_private_segment 0
		.amdhsa_system_sgpr_workgroup_id_x 1
		.amdhsa_system_sgpr_workgroup_id_y 0
		.amdhsa_system_sgpr_workgroup_id_z 0
		.amdhsa_system_sgpr_workgroup_info 0
		.amdhsa_system_vgpr_workitem_id 0
		.amdhsa_next_free_vgpr 13
		.amdhsa_next_free_sgpr 9
		.amdhsa_named_barrier_count 0
		.amdhsa_reserve_vcc 1
		.amdhsa_float_round_mode_32 0
		.amdhsa_float_round_mode_16_64 0
		.amdhsa_float_denorm_mode_32 3
		.amdhsa_float_denorm_mode_16_64 3
		.amdhsa_fp16_overflow 0
		.amdhsa_memory_ordered 1
		.amdhsa_forward_progress 1
		.amdhsa_inst_pref_size 4
		.amdhsa_round_robin_scheduling 0
		.amdhsa_exception_fp_ieee_invalid_op 0
		.amdhsa_exception_fp_denorm_src 0
		.amdhsa_exception_fp_ieee_div_zero 0
		.amdhsa_exception_fp_ieee_overflow 0
		.amdhsa_exception_fp_ieee_underflow 0
		.amdhsa_exception_fp_ieee_inexact 0
		.amdhsa_exception_int_div_zero 0
	.end_amdhsa_kernel
	.section	.text._Z17flag_heads_kernelI6__halfiN10test_utils7greaterELj37ELj5EEvPT_Px,"axG",@progbits,_Z17flag_heads_kernelI6__halfiN10test_utils7greaterELj37ELj5EEvPT_Px,comdat
.Lfunc_end3:
	.size	_Z17flag_heads_kernelI6__halfiN10test_utils7greaterELj37ELj5EEvPT_Px, .Lfunc_end3-_Z17flag_heads_kernelI6__halfiN10test_utils7greaterELj37ELj5EEvPT_Px
                                        ; -- End function
	.set _Z17flag_heads_kernelI6__halfiN10test_utils7greaterELj37ELj5EEvPT_Px.num_vgpr, 13
	.set _Z17flag_heads_kernelI6__halfiN10test_utils7greaterELj37ELj5EEvPT_Px.num_agpr, 0
	.set _Z17flag_heads_kernelI6__halfiN10test_utils7greaterELj37ELj5EEvPT_Px.numbered_sgpr, 9
	.set _Z17flag_heads_kernelI6__halfiN10test_utils7greaterELj37ELj5EEvPT_Px.num_named_barrier, 0
	.set _Z17flag_heads_kernelI6__halfiN10test_utils7greaterELj37ELj5EEvPT_Px.private_seg_size, 0
	.set _Z17flag_heads_kernelI6__halfiN10test_utils7greaterELj37ELj5EEvPT_Px.uses_vcc, 1
	.set _Z17flag_heads_kernelI6__halfiN10test_utils7greaterELj37ELj5EEvPT_Px.uses_flat_scratch, 0
	.set _Z17flag_heads_kernelI6__halfiN10test_utils7greaterELj37ELj5EEvPT_Px.has_dyn_sized_stack, 0
	.set _Z17flag_heads_kernelI6__halfiN10test_utils7greaterELj37ELj5EEvPT_Px.has_recursion, 0
	.set _Z17flag_heads_kernelI6__halfiN10test_utils7greaterELj37ELj5EEvPT_Px.has_indirect_call, 0
	.section	.AMDGPU.csdata,"",@progbits
; Kernel info:
; codeLenInByte = 496
; TotalNumSgprs: 11
; NumVgprs: 13
; ScratchSize: 0
; MemoryBound: 0
; FloatMode: 240
; IeeeMode: 1
; LDSByteSize: 148 bytes/workgroup (compile time only)
; SGPRBlocks: 0
; VGPRBlocks: 0
; NumSGPRsForWavesPerEU: 11
; NumVGPRsForWavesPerEU: 13
; NamedBarCnt: 0
; Occupancy: 16
; WaveLimiterHint : 0
; COMPUTE_PGM_RSRC2:SCRATCH_EN: 0
; COMPUTE_PGM_RSRC2:USER_SGPR: 2
; COMPUTE_PGM_RSRC2:TRAP_HANDLER: 0
; COMPUTE_PGM_RSRC2:TGID_X_EN: 1
; COMPUTE_PGM_RSRC2:TGID_Y_EN: 0
; COMPUTE_PGM_RSRC2:TGID_Z_EN: 0
; COMPUTE_PGM_RSRC2:TIDIG_COMP_CNT: 0
	.section	.text._Z17flag_heads_kernelIdjN6hipcub8EqualityELj464ELj2EEvPT_Px,"axG",@progbits,_Z17flag_heads_kernelIdjN6hipcub8EqualityELj464ELj2EEvPT_Px,comdat
	.protected	_Z17flag_heads_kernelIdjN6hipcub8EqualityELj464ELj2EEvPT_Px ; -- Begin function _Z17flag_heads_kernelIdjN6hipcub8EqualityELj464ELj2EEvPT_Px
	.globl	_Z17flag_heads_kernelIdjN6hipcub8EqualityELj464ELj2EEvPT_Px
	.p2align	8
	.type	_Z17flag_heads_kernelIdjN6hipcub8EqualityELj464ELj2EEvPT_Px,@function
_Z17flag_heads_kernelIdjN6hipcub8EqualityELj464ELj2EEvPT_Px: ; @_Z17flag_heads_kernelIdjN6hipcub8EqualityELj464ELj2EEvPT_Px
; %bb.0:
	s_load_b128 s[0:3], s[0:1], 0x0
	s_bfe_u32 s4, ttmp6, 0x4000c
	s_and_b32 s5, ttmp6, 15
	s_add_co_i32 s4, s4, 1
	s_getreg_b32 s6, hwreg(HW_REG_IB_STS2, 6, 4)
	s_mul_i32 s4, ttmp9, s4
	s_mov_b32 s7, 0
	s_add_co_i32 s5, s5, s4
	s_cmp_eq_u32 s6, 0
	v_dual_lshlrev_b32 v1, 1, v0 :: v_dual_lshlrev_b32 v9, 3, v0
	s_cselect_b32 s10, ttmp9, s5
	v_cmp_ne_u32_e32 vcc_lo, 0, v0
	s_mul_i32 s6, s10, 0x3a0
	s_delay_alu instid0(SALU_CYCLE_1)
	s_lshl_b64 s[4:5], s[6:7], 3
	s_bitcmp0_b32 s10, 0
	s_wait_kmcnt 0x0
	s_add_nc_u64 s[8:9], s[0:1], s[4:5]
	global_load_b128 v[2:5], v0, s[8:9] scale_offset
	s_cbranch_scc1 .LBB4_4
; %bb.1:
	s_add_co_i32 s6, s6, -1
	s_wait_loadcnt 0x0
	ds_store_b64 v9, v[4:5]
	s_load_b64 s[0:1], s[0:1], s6 offset:0x0 scale_offset
	s_wait_dscnt 0x0
	s_barrier_signal -1
	s_barrier_wait -1
	s_wait_kmcnt 0x0
	v_mov_b64_e32 v[6:7], s[0:1]
	s_and_saveexec_b32 s0, vcc_lo
; %bb.2:
	v_add_nc_u32_e32 v6, -8, v9
	ds_load_b64 v[6:7], v6
; %bb.3:
	s_or_b32 exec_lo, exec_lo, s0
	v_cmp_eq_f64_e32 vcc_lo, v[4:5], v[2:3]
	v_cndmask_b32_e64 v8, 0, 1, vcc_lo
	s_wait_dscnt 0x0
	v_cmp_eq_f64_e32 vcc_lo, v[2:3], v[6:7]
	v_cndmask_b32_e64 v6, 0, 1, vcc_lo
	s_branch .LBB4_8
.LBB4_4:
                                        ; implicit-def: $vgpr8
	s_cbranch_execz .LBB4_8
; %bb.5:
	v_mov_b32_e32 v6, 1
	s_mov_b32 s1, exec_lo
	s_wait_loadcnt 0x0
	v_cmp_eq_f64_e32 vcc_lo, v[4:5], v[2:3]
	ds_store_b64 v9, v[4:5]
	s_wait_dscnt 0x0
	s_barrier_signal -1
	s_barrier_wait -1
	v_cmpx_ne_u32_e32 0, v0
	s_cbranch_execz .LBB4_7
; %bb.6:
	v_add_nc_u32_e32 v0, -8, v9
	ds_load_b64 v[4:5], v0
	s_wait_dscnt 0x0
	v_cmp_eq_f64_e64 s0, v[2:3], v[4:5]
	s_delay_alu instid0(VALU_DEP_1)
	v_cndmask_b32_e64 v6, 0, 1, s0
.LBB4_7:
	s_or_b32 exec_lo, exec_lo, s1
	v_cndmask_b32_e64 v8, 0, 1, vcc_lo
.LBB4_8:
	s_wait_xcnt 0x0
	v_dual_mov_b32 v7, 0 :: v_dual_lshlrev_b32 v0, 3, v1
	s_add_nc_u64 s[0:1], s[2:3], s[4:5]
	s_delay_alu instid0(VALU_DEP_1)
	v_mov_b32_e32 v9, v7
	global_store_b128 v0, v[6:9], s[0:1]
	s_endpgm
	.section	.rodata,"a",@progbits
	.p2align	6, 0x0
	.amdhsa_kernel _Z17flag_heads_kernelIdjN6hipcub8EqualityELj464ELj2EEvPT_Px
		.amdhsa_group_segment_fixed_size 7424
		.amdhsa_private_segment_fixed_size 0
		.amdhsa_kernarg_size 16
		.amdhsa_user_sgpr_count 2
		.amdhsa_user_sgpr_dispatch_ptr 0
		.amdhsa_user_sgpr_queue_ptr 0
		.amdhsa_user_sgpr_kernarg_segment_ptr 1
		.amdhsa_user_sgpr_dispatch_id 0
		.amdhsa_user_sgpr_kernarg_preload_length 0
		.amdhsa_user_sgpr_kernarg_preload_offset 0
		.amdhsa_user_sgpr_private_segment_size 0
		.amdhsa_wavefront_size32 1
		.amdhsa_uses_dynamic_stack 0
		.amdhsa_enable_private_segment 0
		.amdhsa_system_sgpr_workgroup_id_x 1
		.amdhsa_system_sgpr_workgroup_id_y 0
		.amdhsa_system_sgpr_workgroup_id_z 0
		.amdhsa_system_sgpr_workgroup_info 0
		.amdhsa_system_vgpr_workitem_id 0
		.amdhsa_next_free_vgpr 10
		.amdhsa_next_free_sgpr 11
		.amdhsa_named_barrier_count 0
		.amdhsa_reserve_vcc 1
		.amdhsa_float_round_mode_32 0
		.amdhsa_float_round_mode_16_64 0
		.amdhsa_float_denorm_mode_32 3
		.amdhsa_float_denorm_mode_16_64 3
		.amdhsa_fp16_overflow 0
		.amdhsa_memory_ordered 1
		.amdhsa_forward_progress 1
		.amdhsa_inst_pref_size 3
		.amdhsa_round_robin_scheduling 0
		.amdhsa_exception_fp_ieee_invalid_op 0
		.amdhsa_exception_fp_denorm_src 0
		.amdhsa_exception_fp_ieee_div_zero 0
		.amdhsa_exception_fp_ieee_overflow 0
		.amdhsa_exception_fp_ieee_underflow 0
		.amdhsa_exception_fp_ieee_inexact 0
		.amdhsa_exception_int_div_zero 0
	.end_amdhsa_kernel
	.section	.text._Z17flag_heads_kernelIdjN6hipcub8EqualityELj464ELj2EEvPT_Px,"axG",@progbits,_Z17flag_heads_kernelIdjN6hipcub8EqualityELj464ELj2EEvPT_Px,comdat
.Lfunc_end4:
	.size	_Z17flag_heads_kernelIdjN6hipcub8EqualityELj464ELj2EEvPT_Px, .Lfunc_end4-_Z17flag_heads_kernelIdjN6hipcub8EqualityELj464ELj2EEvPT_Px
                                        ; -- End function
	.set _Z17flag_heads_kernelIdjN6hipcub8EqualityELj464ELj2EEvPT_Px.num_vgpr, 10
	.set _Z17flag_heads_kernelIdjN6hipcub8EqualityELj464ELj2EEvPT_Px.num_agpr, 0
	.set _Z17flag_heads_kernelIdjN6hipcub8EqualityELj464ELj2EEvPT_Px.numbered_sgpr, 11
	.set _Z17flag_heads_kernelIdjN6hipcub8EqualityELj464ELj2EEvPT_Px.num_named_barrier, 0
	.set _Z17flag_heads_kernelIdjN6hipcub8EqualityELj464ELj2EEvPT_Px.private_seg_size, 0
	.set _Z17flag_heads_kernelIdjN6hipcub8EqualityELj464ELj2EEvPT_Px.uses_vcc, 1
	.set _Z17flag_heads_kernelIdjN6hipcub8EqualityELj464ELj2EEvPT_Px.uses_flat_scratch, 0
	.set _Z17flag_heads_kernelIdjN6hipcub8EqualityELj464ELj2EEvPT_Px.has_dyn_sized_stack, 0
	.set _Z17flag_heads_kernelIdjN6hipcub8EqualityELj464ELj2EEvPT_Px.has_recursion, 0
	.set _Z17flag_heads_kernelIdjN6hipcub8EqualityELj464ELj2EEvPT_Px.has_indirect_call, 0
	.section	.AMDGPU.csdata,"",@progbits
; Kernel info:
; codeLenInByte = 340
; TotalNumSgprs: 13
; NumVgprs: 10
; ScratchSize: 0
; MemoryBound: 0
; FloatMode: 240
; IeeeMode: 1
; LDSByteSize: 7424 bytes/workgroup (compile time only)
; SGPRBlocks: 0
; VGPRBlocks: 0
; NumSGPRsForWavesPerEU: 13
; NumVGPRsForWavesPerEU: 10
; NamedBarCnt: 0
; Occupancy: 15
; WaveLimiterHint : 0
; COMPUTE_PGM_RSRC2:SCRATCH_EN: 0
; COMPUTE_PGM_RSRC2:USER_SGPR: 2
; COMPUTE_PGM_RSRC2:TRAP_HANDLER: 0
; COMPUTE_PGM_RSRC2:TGID_X_EN: 1
; COMPUTE_PGM_RSRC2:TGID_Y_EN: 0
; COMPUTE_PGM_RSRC2:TGID_Z_EN: 0
; COMPUTE_PGM_RSRC2:TIDIG_COMP_CNT: 0
	.section	.text._Z17flag_heads_kernelIdi15custom_flag_op2IdELj33ELj5EEvPT_Px,"axG",@progbits,_Z17flag_heads_kernelIdi15custom_flag_op2IdELj33ELj5EEvPT_Px,comdat
	.protected	_Z17flag_heads_kernelIdi15custom_flag_op2IdELj33ELj5EEvPT_Px ; -- Begin function _Z17flag_heads_kernelIdi15custom_flag_op2IdELj33ELj5EEvPT_Px
	.globl	_Z17flag_heads_kernelIdi15custom_flag_op2IdELj33ELj5EEvPT_Px
	.p2align	8
	.type	_Z17flag_heads_kernelIdi15custom_flag_op2IdELj33ELj5EEvPT_Px,@function
_Z17flag_heads_kernelIdi15custom_flag_op2IdELj33ELj5EEvPT_Px: ; @_Z17flag_heads_kernelIdi15custom_flag_op2IdELj33ELj5EEvPT_Px
; %bb.0:
	s_load_b128 s[0:3], s[0:1], 0x0
	s_bfe_u32 s4, ttmp6, 0x4000c
	s_and_b32 s5, ttmp6, 15
	s_add_co_i32 s4, s4, 1
	s_getreg_b32 s6, hwreg(HW_REG_IB_STS2, 6, 4)
	s_mul_i32 s4, ttmp9, s4
	v_mul_u32_u24_e32 v1, 5, v0
	s_add_co_i32 s5, s5, s4
	s_cmp_eq_u32 s6, 0
	s_mov_b32 s7, 0
	s_cselect_b32 s10, ttmp9, s5
	v_dual_lshlrev_b32 v24, 3, v1 :: v_dual_lshlrev_b32 v17, 3, v0
	s_mul_i32 s6, s10, 0xa5
	v_cmp_ne_u32_e32 vcc_lo, 0, v0
	s_lshl_b64 s[4:5], s[6:7], 3
	s_bitcmp0_b32 s10, 0
	s_wait_kmcnt 0x0
	s_add_nc_u64 s[8:9], s[0:1], s[4:5]
	s_clause 0x2
	global_load_b128 v[6:9], v24, s[8:9] offset:24
	global_load_b128 v[2:5], v24, s[8:9]
	global_load_b128 v[10:13], v24, s[8:9] offset:8
	s_cbranch_scc1 .LBB5_4
; %bb.1:
	s_add_co_i32 s6, s6, -1
	s_wait_loadcnt 0x2
	ds_store_b64 v17, v[8:9]
	s_load_b64 s[0:1], s[0:1], s6 offset:0x0 scale_offset
	s_wait_loadcnt_dscnt 0x0
	s_barrier_signal -1
	s_barrier_wait -1
	s_wait_kmcnt 0x0
	v_mov_b64_e32 v[14:15], s[0:1]
	s_and_saveexec_b32 s0, vcc_lo
; %bb.2:
	v_add_nc_u32_e32 v14, -8, v17
	ds_load_b64 v[14:15], v14
; %bb.3:
	s_or_b32 exec_lo, exec_lo, s0
	v_add_f64_e64 v[18:19], v[8:9], -v[6:7]
	v_add_f64_e64 v[20:21], v[6:7], -v[12:13]
	;; [unrolled: 1-line block ×4, first 2 shown]
	s_wait_dscnt 0x0
	v_add_f64_e64 v[30:31], v[2:3], -v[14:15]
	v_cmp_lt_f64_e32 vcc_lo, 0x40140000, v[18:19]
	v_cndmask_b32_e64 v22, 0, 1, vcc_lo
	v_cmp_lt_f64_e32 vcc_lo, 0x40140000, v[20:21]
	v_cndmask_b32_e64 v16, 0, 1, vcc_lo
	;; [unrolled: 2-line block ×5, first 2 shown]
	s_branch .LBB5_8
.LBB5_4:
                                        ; implicit-def: $vgpr22
                                        ; implicit-def: $vgpr16
                                        ; implicit-def: $vgpr20
	s_cbranch_execz .LBB5_8
; %bb.5:
	s_wait_loadcnt 0x0
	v_add_f64_e64 v[4:5], v[12:13], -v[4:5]
	v_add_f64_e64 v[10:11], v[10:11], -v[2:3]
	;; [unrolled: 1-line block ×4, first 2 shown]
	ds_store_b64 v17, v[8:9]
	s_wait_dscnt 0x0
	s_barrier_signal -1
	s_barrier_wait -1
	v_cmp_lt_f64_e64 s0, 0x40140000, v[4:5]
	s_delay_alu instid0(VALU_DEP_1) | instskip(SKIP_1) | instid1(VALU_DEP_1)
	v_cndmask_b32_e64 v14, 0, 1, s0
	v_cmp_lt_f64_e64 s0, 0x40140000, v[10:11]
	v_cndmask_b32_e64 v20, 0, 1, s0
	v_cmp_lt_f64_e64 s0, 0x40140000, v[18:19]
	v_mov_b32_e32 v18, 1
	s_delay_alu instid0(VALU_DEP_2) | instskip(SKIP_1) | instid1(VALU_DEP_1)
	v_cndmask_b32_e64 v22, 0, 1, s0
	v_cmp_lt_f64_e64 s0, 0x40140000, v[6:7]
	v_cndmask_b32_e64 v16, 0, 1, s0
	s_mov_b32 s0, exec_lo
	v_cmpx_ne_u32_e32 0, v0
	s_cbranch_execz .LBB5_7
; %bb.6:
	v_add_nc_u32_e32 v0, -8, v17
	ds_load_b64 v[4:5], v0
	s_wait_dscnt 0x0
	v_add_f64_e64 v[2:3], v[2:3], -v[4:5]
	s_delay_alu instid0(VALU_DEP_1)
	v_cmp_lt_f64_e32 vcc_lo, 0x40140000, v[2:3]
	v_cndmask_b32_e64 v18, 0, 1, vcc_lo
.LBB5_7:
	s_or_b32 exec_lo, exec_lo, s0
.LBB5_8:
	s_delay_alu instid0(VALU_DEP_1)
	v_dual_ashrrev_i32 v19, 31, v18 :: v_dual_ashrrev_i32 v17, 31, v16
	v_dual_ashrrev_i32 v15, 31, v14 :: v_dual_ashrrev_i32 v21, 31, v20
	v_ashrrev_i32_e32 v23, 31, v22
	s_add_nc_u64 s[0:1], s[2:3], s[4:5]
	s_clause 0x2
	global_store_b128 v24, v[14:17], s[0:1] offset:16
	global_store_b128 v24, v[18:21], s[0:1]
	global_store_b64 v1, v[22:23], s[0:1] offset:32 scale_offset
	s_endpgm
	.section	.rodata,"a",@progbits
	.p2align	6, 0x0
	.amdhsa_kernel _Z17flag_heads_kernelIdi15custom_flag_op2IdELj33ELj5EEvPT_Px
		.amdhsa_group_segment_fixed_size 528
		.amdhsa_private_segment_fixed_size 0
		.amdhsa_kernarg_size 16
		.amdhsa_user_sgpr_count 2
		.amdhsa_user_sgpr_dispatch_ptr 0
		.amdhsa_user_sgpr_queue_ptr 0
		.amdhsa_user_sgpr_kernarg_segment_ptr 1
		.amdhsa_user_sgpr_dispatch_id 0
		.amdhsa_user_sgpr_kernarg_preload_length 0
		.amdhsa_user_sgpr_kernarg_preload_offset 0
		.amdhsa_user_sgpr_private_segment_size 0
		.amdhsa_wavefront_size32 1
		.amdhsa_uses_dynamic_stack 0
		.amdhsa_enable_private_segment 0
		.amdhsa_system_sgpr_workgroup_id_x 1
		.amdhsa_system_sgpr_workgroup_id_y 0
		.amdhsa_system_sgpr_workgroup_id_z 0
		.amdhsa_system_sgpr_workgroup_info 0
		.amdhsa_system_vgpr_workitem_id 0
		.amdhsa_next_free_vgpr 32
		.amdhsa_next_free_sgpr 11
		.amdhsa_named_barrier_count 0
		.amdhsa_reserve_vcc 1
		.amdhsa_float_round_mode_32 0
		.amdhsa_float_round_mode_16_64 0
		.amdhsa_float_denorm_mode_32 3
		.amdhsa_float_denorm_mode_16_64 3
		.amdhsa_fp16_overflow 0
		.amdhsa_memory_ordered 1
		.amdhsa_forward_progress 1
		.amdhsa_inst_pref_size 5
		.amdhsa_round_robin_scheduling 0
		.amdhsa_exception_fp_ieee_invalid_op 0
		.amdhsa_exception_fp_denorm_src 0
		.amdhsa_exception_fp_ieee_div_zero 0
		.amdhsa_exception_fp_ieee_overflow 0
		.amdhsa_exception_fp_ieee_underflow 0
		.amdhsa_exception_fp_ieee_inexact 0
		.amdhsa_exception_int_div_zero 0
	.end_amdhsa_kernel
	.section	.text._Z17flag_heads_kernelIdi15custom_flag_op2IdELj33ELj5EEvPT_Px,"axG",@progbits,_Z17flag_heads_kernelIdi15custom_flag_op2IdELj33ELj5EEvPT_Px,comdat
.Lfunc_end5:
	.size	_Z17flag_heads_kernelIdi15custom_flag_op2IdELj33ELj5EEvPT_Px, .Lfunc_end5-_Z17flag_heads_kernelIdi15custom_flag_op2IdELj33ELj5EEvPT_Px
                                        ; -- End function
	.set _Z17flag_heads_kernelIdi15custom_flag_op2IdELj33ELj5EEvPT_Px.num_vgpr, 32
	.set _Z17flag_heads_kernelIdi15custom_flag_op2IdELj33ELj5EEvPT_Px.num_agpr, 0
	.set _Z17flag_heads_kernelIdi15custom_flag_op2IdELj33ELj5EEvPT_Px.numbered_sgpr, 11
	.set _Z17flag_heads_kernelIdi15custom_flag_op2IdELj33ELj5EEvPT_Px.num_named_barrier, 0
	.set _Z17flag_heads_kernelIdi15custom_flag_op2IdELj33ELj5EEvPT_Px.private_seg_size, 0
	.set _Z17flag_heads_kernelIdi15custom_flag_op2IdELj33ELj5EEvPT_Px.uses_vcc, 1
	.set _Z17flag_heads_kernelIdi15custom_flag_op2IdELj33ELj5EEvPT_Px.uses_flat_scratch, 0
	.set _Z17flag_heads_kernelIdi15custom_flag_op2IdELj33ELj5EEvPT_Px.has_dyn_sized_stack, 0
	.set _Z17flag_heads_kernelIdi15custom_flag_op2IdELj33ELj5EEvPT_Px.has_recursion, 0
	.set _Z17flag_heads_kernelIdi15custom_flag_op2IdELj33ELj5EEvPT_Px.has_indirect_call, 0
	.section	.AMDGPU.csdata,"",@progbits
; Kernel info:
; codeLenInByte = 620
; TotalNumSgprs: 13
; NumVgprs: 32
; ScratchSize: 0
; MemoryBound: 0
; FloatMode: 240
; IeeeMode: 1
; LDSByteSize: 528 bytes/workgroup (compile time only)
; SGPRBlocks: 0
; VGPRBlocks: 1
; NumSGPRsForWavesPerEU: 13
; NumVGPRsForWavesPerEU: 32
; NamedBarCnt: 0
; Occupancy: 16
; WaveLimiterHint : 0
; COMPUTE_PGM_RSRC2:SCRATCH_EN: 0
; COMPUTE_PGM_RSRC2:USER_SGPR: 2
; COMPUTE_PGM_RSRC2:TRAP_HANDLER: 0
; COMPUTE_PGM_RSRC2:TGID_X_EN: 1
; COMPUTE_PGM_RSRC2:TGID_Y_EN: 0
; COMPUTE_PGM_RSRC2:TGID_Z_EN: 0
; COMPUTE_PGM_RSRC2:TIDIG_COMP_CNT: 0
	.section	.text._Z17flag_heads_kernelIssN6hipcub8EqualityELj512ELj8EEvPT_Px,"axG",@progbits,_Z17flag_heads_kernelIssN6hipcub8EqualityELj512ELj8EEvPT_Px,comdat
	.protected	_Z17flag_heads_kernelIssN6hipcub8EqualityELj512ELj8EEvPT_Px ; -- Begin function _Z17flag_heads_kernelIssN6hipcub8EqualityELj512ELj8EEvPT_Px
	.globl	_Z17flag_heads_kernelIssN6hipcub8EqualityELj512ELj8EEvPT_Px
	.p2align	8
	.type	_Z17flag_heads_kernelIssN6hipcub8EqualityELj512ELj8EEvPT_Px,@function
_Z17flag_heads_kernelIssN6hipcub8EqualityELj512ELj8EEvPT_Px: ; @_Z17flag_heads_kernelIssN6hipcub8EqualityELj512ELj8EEvPT_Px
; %bb.0:
	s_load_b128 s[0:3], s[0:1], 0x0
	s_bfe_u32 s4, ttmp6, 0x4000c
	s_and_b32 s5, ttmp6, 15
	s_add_co_i32 s4, s4, 1
	s_getreg_b32 s6, hwreg(HW_REG_IB_STS2, 6, 4)
	s_mul_i32 s4, ttmp9, s4
	v_dual_lshlrev_b32 v1, 4, v0 :: v_dual_lshlrev_b32 v5, 1, v0
	s_add_co_i32 s5, s5, s4
	s_cmp_eq_u32 s6, 0
	v_cmp_ne_u32_e32 vcc_lo, 0, v0
	s_cselect_b32 s8, ttmp9, s5
	s_mov_b32 s5, 0
	s_lshl_b32 s4, s8, 12
	s_delay_alu instid0(SALU_CYCLE_1)
	s_lshl_b64 s[6:7], s[4:5], 1
	s_bitcmp0_b32 s8, 0
	s_wait_kmcnt 0x0
	s_add_nc_u64 s[6:7], s[0:1], s[6:7]
	s_clause 0x3
	global_load_b32 v4, v1, s[6:7]
	global_load_b32 v7, v1, s[6:7] offset:10
	global_load_u16 v6, v1, s[6:7] offset:14
	global_load_b64 v[2:3], v1, s[6:7] offset:2
	s_wait_xcnt 0x0
	v_lshlrev_b32_e32 v1, 3, v0
	s_cbranch_scc1 .LBB6_4
; %bb.1:
	s_add_co_i32 s6, s4, -1
	s_wait_loadcnt 0x1
	ds_store_b16 v5, v6
	v_mov_b32_e32 v8, s6
	global_load_u16 v8, v8, s[0:1] scale_offset
	s_wait_loadcnt_dscnt 0x0
	s_barrier_signal -1
	s_barrier_wait -1
	s_and_saveexec_b32 s0, vcc_lo
; %bb.2:
	v_add_nc_u32_e32 v8, -2, v5
	ds_load_u16 v8, v8
; %bb.3:
	s_or_b32 exec_lo, exec_lo, s0
	v_dual_lshrrev_b32 v9, 16, v7 :: v_dual_lshrrev_b32 v11, 16, v2
	v_lshrrev_b32_e32 v10, 16, v3
	s_delay_alu instid0(VALU_DEP_2)
	v_cmp_eq_u16_e32 vcc_lo, v6, v9
	v_cndmask_b32_e64 v12, 0, 1, vcc_lo
	s_wait_dscnt 0x0
	v_cmp_eq_u16_e32 vcc_lo, v4, v8
	v_cndmask_b32_e64 v8, 0, 1, vcc_lo
	v_cmp_eq_u16_e32 vcc_lo, v11, v2
	v_cndmask_b32_e64 v13, 0, 1, vcc_lo
	;; [unrolled: 2-line block ×4, first 2 shown]
	v_cmp_eq_u16_e32 vcc_lo, v3, v11
	s_delay_alu instid0(VALU_DEP_4) | instskip(SKIP_2) | instid1(VALU_DEP_2)
	v_perm_b32 v11, v14, v8, 0x5040100
	v_cndmask_b32_e64 v16, 0, 1, vcc_lo
	v_cmp_eq_u16_e32 vcc_lo, v7, v10
	v_perm_b32 v10, v16, v13, 0x5040100
	v_cndmask_b32_e64 v17, 0, 1, vcc_lo
	v_cmp_eq_u16_e32 vcc_lo, v9, v7
	s_delay_alu instid0(VALU_DEP_2) | instskip(SKIP_1) | instid1(VALU_DEP_1)
	v_perm_b32 v9, v17, v15, 0x5040100
	v_cndmask_b32_e64 v18, 0, 1, vcc_lo
	v_perm_b32 v8, v12, v18, 0x5040100
	s_branch .LBB6_8
.LBB6_4:
                                        ; implicit-def: $vgpr8
                                        ; implicit-def: $vgpr9
                                        ; implicit-def: $vgpr10
                                        ; implicit-def: $vgpr11
	s_cbranch_execz .LBB6_8
; %bb.5:
	s_wait_loadcnt 0x0
	v_dual_lshrrev_b32 v8, 16, v7 :: v_dual_lshrrev_b32 v9, 16, v2
	v_dual_lshrrev_b32 v10, 16, v4 :: v_dual_lshrrev_b32 v11, 16, v3
	s_mov_b32 s0, exec_lo
	s_delay_alu instid0(VALU_DEP_2)
	v_cmp_eq_u16_e32 vcc_lo, v6, v8
	ds_store_b16 v5, v6
	s_wait_dscnt 0x0
	s_barrier_signal -1
	s_barrier_wait -1
	v_cndmask_b32_e64 v12, 0, 1, vcc_lo
	v_cmp_eq_u16_e32 vcc_lo, v9, v10
	v_cndmask_b32_e64 v10, 0, 1, vcc_lo
	v_cmp_eq_u16_e32 vcc_lo, v2, v4
	v_cndmask_b32_e64 v2, 0, 1, vcc_lo
	v_cmp_eq_u16_e32 vcc_lo, v11, v3
	v_cndmask_b32_e64 v13, 0, 1, vcc_lo
	v_cmp_eq_u16_e32 vcc_lo, v3, v9
	v_cndmask_b32_e64 v3, 0, 1, vcc_lo
	v_cmp_eq_u16_e32 vcc_lo, v7, v11
	v_perm_b32 v11, v2, 1, 0x5040100
	s_delay_alu instid0(VALU_DEP_3) | instskip(SKIP_2) | instid1(VALU_DEP_2)
	v_perm_b32 v10, v3, v10, 0x5040100
	v_cndmask_b32_e64 v9, 0, 1, vcc_lo
	v_cmp_eq_u16_e32 vcc_lo, v8, v7
	v_perm_b32 v9, v9, v13, 0x5040100
	v_cndmask_b32_e64 v7, 0, 1, vcc_lo
	s_delay_alu instid0(VALU_DEP_1)
	v_perm_b32 v8, v12, v7, 0x5040100
	v_cmpx_ne_u32_e32 0, v0
	s_cbranch_execz .LBB6_7
; %bb.6:
	v_add_nc_u32_e32 v0, -2, v5
	ds_load_u16 v0, v0
	s_wait_dscnt 0x0
	v_cmp_eq_u16_e32 vcc_lo, v4, v0
	v_cndmask_b32_e64 v0, 0, 1, vcc_lo
	s_delay_alu instid0(VALU_DEP_1)
	v_bfi_b32 v11, 0xffff, v0, v11
.LBB6_7:
	s_or_b32 exec_lo, exec_lo, s0
.LBB6_8:
	s_wait_loadcnt 0x0
	s_delay_alu instid0(VALU_DEP_1)
	v_dual_lshrrev_b32 v2, 16, v11 :: v_dual_lshlrev_b32 v18, 3, v1
	v_dual_lshrrev_b32 v6, 16, v10 :: v_dual_lshrrev_b32 v7, 16, v9
	v_bfe_i32 v0, v11, 0, 16
	v_bfe_i32 v14, v8, 0, 16
	v_lshrrev_b32_e32 v11, 16, v8
	v_bfe_i32 v2, v2, 0, 16
	v_bfe_i32 v4, v10, 0, 16
	;; [unrolled: 1-line block ×5, first 2 shown]
	v_ashrrev_i32_e32 v15, 31, v14
	v_bfe_i32 v16, v11, 0, 16
	v_dual_ashrrev_i32 v1, 31, v0 :: v_dual_ashrrev_i32 v3, 31, v2
	s_lshl_b64 s[0:1], s[4:5], 3
	v_dual_ashrrev_i32 v5, 31, v4 :: v_dual_ashrrev_i32 v7, 31, v6
	v_dual_ashrrev_i32 v11, 31, v10 :: v_dual_ashrrev_i32 v13, 31, v12
	s_add_nc_u64 s[0:1], s[2:3], s[0:1]
	v_ashrrev_i32_e32 v17, 31, v16
	s_clause 0x3
	global_store_b128 v18, v[0:3], s[0:1]
	global_store_b128 v18, v[4:7], s[0:1] offset:16
	global_store_b128 v18, v[10:13], s[0:1] offset:32
	;; [unrolled: 1-line block ×3, first 2 shown]
	s_endpgm
	.section	.rodata,"a",@progbits
	.p2align	6, 0x0
	.amdhsa_kernel _Z17flag_heads_kernelIssN6hipcub8EqualityELj512ELj8EEvPT_Px
		.amdhsa_group_segment_fixed_size 2048
		.amdhsa_private_segment_fixed_size 0
		.amdhsa_kernarg_size 16
		.amdhsa_user_sgpr_count 2
		.amdhsa_user_sgpr_dispatch_ptr 0
		.amdhsa_user_sgpr_queue_ptr 0
		.amdhsa_user_sgpr_kernarg_segment_ptr 1
		.amdhsa_user_sgpr_dispatch_id 0
		.amdhsa_user_sgpr_kernarg_preload_length 0
		.amdhsa_user_sgpr_kernarg_preload_offset 0
		.amdhsa_user_sgpr_private_segment_size 0
		.amdhsa_wavefront_size32 1
		.amdhsa_uses_dynamic_stack 0
		.amdhsa_enable_private_segment 0
		.amdhsa_system_sgpr_workgroup_id_x 1
		.amdhsa_system_sgpr_workgroup_id_y 0
		.amdhsa_system_sgpr_workgroup_id_z 0
		.amdhsa_system_sgpr_workgroup_info 0
		.amdhsa_system_vgpr_workitem_id 0
		.amdhsa_next_free_vgpr 19
		.amdhsa_next_free_sgpr 9
		.amdhsa_named_barrier_count 0
		.amdhsa_reserve_vcc 1
		.amdhsa_float_round_mode_32 0
		.amdhsa_float_round_mode_16_64 0
		.amdhsa_float_denorm_mode_32 3
		.amdhsa_float_denorm_mode_16_64 3
		.amdhsa_fp16_overflow 0
		.amdhsa_memory_ordered 1
		.amdhsa_forward_progress 1
		.amdhsa_inst_pref_size 7
		.amdhsa_round_robin_scheduling 0
		.amdhsa_exception_fp_ieee_invalid_op 0
		.amdhsa_exception_fp_denorm_src 0
		.amdhsa_exception_fp_ieee_div_zero 0
		.amdhsa_exception_fp_ieee_overflow 0
		.amdhsa_exception_fp_ieee_underflow 0
		.amdhsa_exception_fp_ieee_inexact 0
		.amdhsa_exception_int_div_zero 0
	.end_amdhsa_kernel
	.section	.text._Z17flag_heads_kernelIssN6hipcub8EqualityELj512ELj8EEvPT_Px,"axG",@progbits,_Z17flag_heads_kernelIssN6hipcub8EqualityELj512ELj8EEvPT_Px,comdat
.Lfunc_end6:
	.size	_Z17flag_heads_kernelIssN6hipcub8EqualityELj512ELj8EEvPT_Px, .Lfunc_end6-_Z17flag_heads_kernelIssN6hipcub8EqualityELj512ELj8EEvPT_Px
                                        ; -- End function
	.set _Z17flag_heads_kernelIssN6hipcub8EqualityELj512ELj8EEvPT_Px.num_vgpr, 19
	.set _Z17flag_heads_kernelIssN6hipcub8EqualityELj512ELj8EEvPT_Px.num_agpr, 0
	.set _Z17flag_heads_kernelIssN6hipcub8EqualityELj512ELj8EEvPT_Px.numbered_sgpr, 9
	.set _Z17flag_heads_kernelIssN6hipcub8EqualityELj512ELj8EEvPT_Px.num_named_barrier, 0
	.set _Z17flag_heads_kernelIssN6hipcub8EqualityELj512ELj8EEvPT_Px.private_seg_size, 0
	.set _Z17flag_heads_kernelIssN6hipcub8EqualityELj512ELj8EEvPT_Px.uses_vcc, 1
	.set _Z17flag_heads_kernelIssN6hipcub8EqualityELj512ELj8EEvPT_Px.uses_flat_scratch, 0
	.set _Z17flag_heads_kernelIssN6hipcub8EqualityELj512ELj8EEvPT_Px.has_dyn_sized_stack, 0
	.set _Z17flag_heads_kernelIssN6hipcub8EqualityELj512ELj8EEvPT_Px.has_recursion, 0
	.set _Z17flag_heads_kernelIssN6hipcub8EqualityELj512ELj8EEvPT_Px.has_indirect_call, 0
	.section	.AMDGPU.csdata,"",@progbits
; Kernel info:
; codeLenInByte = 860
; TotalNumSgprs: 11
; NumVgprs: 19
; ScratchSize: 0
; MemoryBound: 0
; FloatMode: 240
; IeeeMode: 1
; LDSByteSize: 2048 bytes/workgroup (compile time only)
; SGPRBlocks: 0
; VGPRBlocks: 1
; NumSGPRsForWavesPerEU: 11
; NumVGPRsForWavesPerEU: 19
; NamedBarCnt: 0
; Occupancy: 16
; WaveLimiterHint : 0
; COMPUTE_PGM_RSRC2:SCRATCH_EN: 0
; COMPUTE_PGM_RSRC2:USER_SGPR: 2
; COMPUTE_PGM_RSRC2:TRAP_HANDLER: 0
; COMPUTE_PGM_RSRC2:TGID_X_EN: 1
; COMPUTE_PGM_RSRC2:TGID_Y_EN: 0
; COMPUTE_PGM_RSRC2:TGID_Z_EN: 0
; COMPUTE_PGM_RSRC2:TIDIG_COMP_CNT: 0
	.section	.text._Z17flag_heads_kernelIth15custom_flag_op2ItELj256ELj7EEvPT_Px,"axG",@progbits,_Z17flag_heads_kernelIth15custom_flag_op2ItELj256ELj7EEvPT_Px,comdat
	.protected	_Z17flag_heads_kernelIth15custom_flag_op2ItELj256ELj7EEvPT_Px ; -- Begin function _Z17flag_heads_kernelIth15custom_flag_op2ItELj256ELj7EEvPT_Px
	.globl	_Z17flag_heads_kernelIth15custom_flag_op2ItELj256ELj7EEvPT_Px
	.p2align	8
	.type	_Z17flag_heads_kernelIth15custom_flag_op2ItELj256ELj7EEvPT_Px,@function
_Z17flag_heads_kernelIth15custom_flag_op2ItELj256ELj7EEvPT_Px: ; @_Z17flag_heads_kernelIth15custom_flag_op2ItELj256ELj7EEvPT_Px
; %bb.0:
	s_load_b128 s[0:3], s[0:1], 0x0
	s_bfe_u32 s4, ttmp6, 0x4000c
	s_and_b32 s5, ttmp6, 15
	s_add_co_i32 s4, s4, 1
	s_getreg_b32 s6, hwreg(HW_REG_IB_STS2, 6, 4)
	s_mul_i32 s4, ttmp9, s4
	v_mul_u32_u24_e32 v1, 7, v0
	s_add_co_i32 s5, s5, s4
	s_cmp_eq_u32 s6, 0
	v_cmp_ne_u32_e32 vcc_lo, 0, v0
	s_cselect_b32 s8, ttmp9, s5
	s_mov_b32 s5, 0
	s_mul_i32 s4, s8, 0x700
	v_lshlrev_b32_e32 v5, 1, v1
	s_lshl_b64 s[6:7], s[4:5], 1
	s_bitcmp0_b32 s8, 0
	s_wait_kmcnt 0x0
	s_add_nc_u64 s[6:7], s[0:1], s[6:7]
	s_clause 0x1
	global_load_b64 v[6:7], v5, s[6:7]
	global_load_b96 v[2:4], v5, s[6:7] offset:2
	s_wait_xcnt 0x0
	v_lshlrev_b32_e32 v5, 1, v0
	s_cbranch_scc1 .LBB7_4
; %bb.1:
	s_add_co_i32 s6, s4, -1
	s_wait_loadcnt 0x0
	ds_store_b16_d16_hi v5, v4
	v_mov_b32_e32 v8, s6
	global_load_u16 v8, v8, s[0:1] scale_offset
	s_wait_loadcnt_dscnt 0x0
	s_barrier_signal -1
	s_barrier_wait -1
	s_and_saveexec_b32 s0, vcc_lo
; %bb.2:
	v_add_nc_u32_e32 v8, -2, v5
	ds_load_u16 v8, v8
; %bb.3:
	s_or_b32 exec_lo, exec_lo, s0
	v_and_b32_e32 v9, 0xffff, v2
	v_and_b32_e32 v10, 0xffff, v6
	v_dual_lshrrev_b32 v11, 16, v2 :: v_dual_lshrrev_b32 v16, 16, v4
	v_and_b32_e32 v12, 0xffff, v3
	s_wait_dscnt 0x0
	v_and_b32_e32 v8, 0xffff, v8
	v_dual_sub_nc_u32 v13, v9, v10 :: v_dual_lshrrev_b32 v17, 16, v3
	v_and_b32_e32 v15, 0xffff, v4
	s_delay_alu instid0(VALU_DEP_3) | instskip(NEXT) | instid1(VALU_DEP_3)
	v_dual_sub_nc_u32 v14, v12, v11 :: v_dual_sub_nc_u32 v8, v10, v8
	v_cmp_lt_i32_e32 vcc_lo, 5, v13
	s_delay_alu instid0(VALU_DEP_4) | instskip(SKIP_1) | instid1(VALU_DEP_4)
	v_dual_sub_nc_u32 v9, v11, v9 :: v_dual_sub_nc_u32 v12, v17, v12
	v_cndmask_b32_e64 v13, 0, 1, vcc_lo
	v_cmp_lt_i32_e32 vcc_lo, 5, v14
	s_delay_alu instid0(VALU_DEP_2) | instskip(SKIP_2) | instid1(VALU_DEP_3)
	v_lshlrev_b16 v13, 8, v13
	v_cndmask_b32_e64 v14, 0, 1, vcc_lo
	v_cmp_lt_i32_e32 vcc_lo, 5, v8
	v_dual_sub_nc_u32 v10, v16, v15 :: v_dual_lshrrev_b32 v13, 8, v13
	s_delay_alu instid0(VALU_DEP_3) | instskip(SKIP_2) | instid1(VALU_DEP_4)
	v_lshlrev_b16 v14, 8, v14
	v_cndmask_b32_e64 v11, 0, 1, vcc_lo
	v_cmp_lt_i32_e32 vcc_lo, 5, v9
	v_lshlrev_b16 v13, 8, v13
	s_delay_alu instid0(VALU_DEP_4) | instskip(SKIP_3) | instid1(VALU_DEP_4)
	v_lshrrev_b32_e32 v14, 8, v14
	v_cndmask_b32_e64 v9, 0, 1, vcc_lo
	v_cmp_lt_i32_e32 vcc_lo, 5, v10
	v_sub_nc_u32_e32 v10, v15, v17
	v_lshlrev_b16 v14, 8, v14
	v_or_b32_e32 v11, v11, v13
	v_cndmask_b32_e64 v8, 0, 1, vcc_lo
	s_delay_alu instid0(VALU_DEP_4) | instskip(NEXT) | instid1(VALU_DEP_4)
	v_cmp_lt_i32_e32 vcc_lo, 5, v10
	v_or_b32_e32 v9, v9, v14
	s_delay_alu instid0(VALU_DEP_4) | instskip(NEXT) | instid1(VALU_DEP_4)
	v_and_b32_e32 v14, 0xffff, v11
	v_lshlrev_b16 v13, 8, v8
	v_cndmask_b32_e64 v10, 0, 1, vcc_lo
	s_delay_alu instid0(VALU_DEP_4) | instskip(SKIP_1) | instid1(VALU_DEP_3)
	v_lshlrev_b32_e32 v9, 16, v9
	v_cmp_lt_i32_e32 vcc_lo, 5, v12
	v_or_b32_e32 v12, v10, v13
	s_delay_alu instid0(VALU_DEP_3)
	v_or_b32_e32 v9, v14, v9
	v_cndmask_b32_e64 v11, 0, 1, vcc_lo
	s_branch .LBB7_8
.LBB7_4:
                                        ; implicit-def: $vgpr8
                                        ; implicit-def: $vgpr12
                                        ; implicit-def: $vgpr11
                                        ; implicit-def: $vgpr9
	s_cbranch_execz .LBB7_8
; %bb.5:
	s_wait_loadcnt 0x0
	v_and_b32_e32 v8, 0xffff, v3
	v_and_b32_e32 v9, 0xffff, v7
	v_and_b32_e32 v11, 0xffff, v2
	v_and_b32_e32 v10, 0xffff, v6
	v_dual_lshrrev_b32 v7, 16, v7 :: v_dual_lshrrev_b32 v2, 16, v2
	s_delay_alu instid0(VALU_DEP_4) | instskip(NEXT) | instid1(VALU_DEP_3)
	v_dual_sub_nc_u32 v8, v8, v9 :: v_dual_lshrrev_b32 v9, 16, v4
	v_dual_sub_nc_u32 v11, v11, v10 :: v_dual_lshrrev_b32 v3, 16, v3
	v_and_b32_e32 v4, 0xffff, v4
	s_delay_alu instid0(VALU_DEP_3)
	v_cmp_lt_i32_e32 vcc_lo, 5, v8
	v_lshrrev_b32_e32 v6, 16, v6
	ds_store_b16 v5, v9
	v_dual_sub_nc_u32 v7, v3, v7 :: v_dual_sub_nc_u32 v12, v9, v4
	v_cndmask_b32_e64 v8, 0, 1, vcc_lo
	v_cmp_lt_i32_e32 vcc_lo, 5, v11
	v_sub_nc_u32_e32 v6, v2, v6
	s_mov_b32 s0, exec_lo
	s_wait_dscnt 0x0
	v_lshlrev_b16 v8, 8, v8
	v_cndmask_b32_e64 v11, 0, 1, vcc_lo
	v_cmp_lt_i32_e32 vcc_lo, 5, v7
	s_barrier_signal -1
	s_barrier_wait -1
	s_delay_alu instid0(VALU_DEP_2) | instskip(SKIP_3) | instid1(VALU_DEP_4)
	v_lshlrev_b16 v11, 8, v11
	v_lshrrev_b32_e32 v8, 8, v8
	v_cndmask_b32_e64 v2, 0, 1, vcc_lo
	v_cmp_lt_i32_e32 vcc_lo, 5, v6
	v_lshrrev_b32_e32 v11, 8, v11
	s_delay_alu instid0(VALU_DEP_4) | instskip(SKIP_2) | instid1(VALU_DEP_4)
	v_lshlrev_b16 v7, 8, v8
	v_cndmask_b32_e64 v6, 0, 1, vcc_lo
	v_cmp_lt_i32_e32 vcc_lo, 5, v12
	v_lshlrev_b16 v11, 8, v11
	s_delay_alu instid0(VALU_DEP_3) | instskip(SKIP_3) | instid1(VALU_DEP_2)
	v_or_b32_e32 v6, v6, v7
	v_sub_nc_u32_e32 v3, v4, v3
	v_lshlrev_b16 v4, 8, v2
	v_cndmask_b32_e64 v8, 0, 1, vcc_lo
	v_dual_lshrrev_b32 v4, 8, v4 :: v_dual_bitop2_b32 v7, 1, v11 bitop3:0x54
	v_lshlrev_b32_e32 v6, 16, v6
	v_cmp_lt_i32_e32 vcc_lo, 5, v3
	s_delay_alu instid0(VALU_DEP_4) | instskip(NEXT) | instid1(VALU_DEP_4)
	v_lshlrev_b16 v11, 8, v8
	v_and_b32_e32 v7, 0xffff, v7
	v_cndmask_b32_e64 v3, 0, 1, vcc_lo
	s_delay_alu instid0(VALU_DEP_2) | instskip(NEXT) | instid1(VALU_DEP_2)
	v_or_b32_e32 v9, v7, v6
	v_or_b32_e32 v12, v3, v11
	v_and_b32_e32 v11, 1, v4
	v_cmpx_ne_u32_e32 0, v0
	s_cbranch_execz .LBB7_7
; %bb.6:
	v_lshlrev_b16 v3, 8, v3
	v_add_nc_u32_e32 v0, -2, v5
	v_dual_lshrrev_b32 v4, 8, v9 :: v_dual_lshrrev_b32 v5, 24, v9
	s_delay_alu instid0(VALU_DEP_3) | instskip(SKIP_4) | instid1(VALU_DEP_1)
	v_dual_lshrrev_b32 v6, 16, v9 :: v_dual_lshrrev_b32 v3, 8, v3
	ds_load_u16 v0, v0
	v_lshlrev_b16 v4, 8, v4
	v_lshlrev_b16 v5, 8, v5
	;; [unrolled: 1-line block ×3, first 2 shown]
	v_or_b32_e32 v2, v2, v3
	s_delay_alu instid0(VALU_DEP_3) | instskip(NEXT) | instid1(VALU_DEP_1)
	v_bitop3_b16 v3, v6, v5, 0xff bitop3:0xec
	v_lshlrev_b32_e32 v3, 16, v3
	s_delay_alu instid0(VALU_DEP_3) | instskip(SKIP_2) | instid1(VALU_DEP_2)
	v_and_b32_e32 v2, 0xffff, v2
	s_wait_dscnt 0x0
	v_sub_nc_u32_e32 v0, v10, v0
	v_lshl_or_b32 v11, v8, 16, v2
	s_delay_alu instid0(VALU_DEP_2) | instskip(NEXT) | instid1(VALU_DEP_2)
	v_cmp_lt_i32_e32 vcc_lo, 5, v0
	v_dual_lshrrev_b32 v12, 8, v11 :: v_dual_lshrrev_b32 v8, 16, v11
	v_cndmask_b32_e64 v0, 0, 1, vcc_lo
	s_delay_alu instid0(VALU_DEP_1) | instskip(NEXT) | instid1(VALU_DEP_1)
	v_or_b32_e32 v0, v0, v4
	v_and_b32_e32 v0, 0xffff, v0
	s_delay_alu instid0(VALU_DEP_1)
	v_or_b32_e32 v9, v0, v3
.LBB7_7:
	s_or_b32 exec_lo, exec_lo, s0
.LBB7_8:
	s_wait_loadcnt 0x0
	v_dual_mov_b32 v3, 0 :: v_dual_lshlrev_b32 v0, 3, v1
	s_delay_alu instid0(VALU_DEP_2) | instskip(SKIP_2) | instid1(VALU_DEP_3)
	v_and_b32_e32 v2, 0xff, v9
	v_bfe_u32 v4, v9, 8, 8
	s_lshl_b64 s[0:1], s[4:5], 3
	v_mov_b32_e32 v5, v3
	s_add_nc_u64 s[0:1], s[2:3], s[0:1]
	global_store_b128 v0, v[2:5], s[0:1]
	s_wait_xcnt 0x0
	v_lshrrev_b32_e32 v4, 24, v9
	v_bfe_u32 v2, v9, 16, 8
	global_store_b128 v0, v[2:5], s[0:1] offset:16
	s_wait_xcnt 0x0
	v_and_b32_e32 v2, 0xff, v11
	v_and_b32_e32 v4, 0xff, v12
	global_store_b128 v0, v[2:5], s[0:1] offset:32
	s_wait_xcnt 0x0
	v_and_b32_e32 v2, 0xff, v8
	global_store_b64 v1, v[2:3], s[0:1] offset:48 scale_offset
	s_endpgm
	.section	.rodata,"a",@progbits
	.p2align	6, 0x0
	.amdhsa_kernel _Z17flag_heads_kernelIth15custom_flag_op2ItELj256ELj7EEvPT_Px
		.amdhsa_group_segment_fixed_size 1024
		.amdhsa_private_segment_fixed_size 0
		.amdhsa_kernarg_size 16
		.amdhsa_user_sgpr_count 2
		.amdhsa_user_sgpr_dispatch_ptr 0
		.amdhsa_user_sgpr_queue_ptr 0
		.amdhsa_user_sgpr_kernarg_segment_ptr 1
		.amdhsa_user_sgpr_dispatch_id 0
		.amdhsa_user_sgpr_kernarg_preload_length 0
		.amdhsa_user_sgpr_kernarg_preload_offset 0
		.amdhsa_user_sgpr_private_segment_size 0
		.amdhsa_wavefront_size32 1
		.amdhsa_uses_dynamic_stack 0
		.amdhsa_enable_private_segment 0
		.amdhsa_system_sgpr_workgroup_id_x 1
		.amdhsa_system_sgpr_workgroup_id_y 0
		.amdhsa_system_sgpr_workgroup_id_z 0
		.amdhsa_system_sgpr_workgroup_info 0
		.amdhsa_system_vgpr_workitem_id 0
		.amdhsa_next_free_vgpr 18
		.amdhsa_next_free_sgpr 9
		.amdhsa_named_barrier_count 0
		.amdhsa_reserve_vcc 1
		.amdhsa_float_round_mode_32 0
		.amdhsa_float_round_mode_16_64 0
		.amdhsa_float_denorm_mode_32 3
		.amdhsa_float_denorm_mode_16_64 3
		.amdhsa_fp16_overflow 0
		.amdhsa_memory_ordered 1
		.amdhsa_forward_progress 1
		.amdhsa_inst_pref_size 9
		.amdhsa_round_robin_scheduling 0
		.amdhsa_exception_fp_ieee_invalid_op 0
		.amdhsa_exception_fp_denorm_src 0
		.amdhsa_exception_fp_ieee_div_zero 0
		.amdhsa_exception_fp_ieee_overflow 0
		.amdhsa_exception_fp_ieee_underflow 0
		.amdhsa_exception_fp_ieee_inexact 0
		.amdhsa_exception_int_div_zero 0
	.end_amdhsa_kernel
	.section	.text._Z17flag_heads_kernelIth15custom_flag_op2ItELj256ELj7EEvPT_Px,"axG",@progbits,_Z17flag_heads_kernelIth15custom_flag_op2ItELj256ELj7EEvPT_Px,comdat
.Lfunc_end7:
	.size	_Z17flag_heads_kernelIth15custom_flag_op2ItELj256ELj7EEvPT_Px, .Lfunc_end7-_Z17flag_heads_kernelIth15custom_flag_op2ItELj256ELj7EEvPT_Px
                                        ; -- End function
	.set _Z17flag_heads_kernelIth15custom_flag_op2ItELj256ELj7EEvPT_Px.num_vgpr, 18
	.set _Z17flag_heads_kernelIth15custom_flag_op2ItELj256ELj7EEvPT_Px.num_agpr, 0
	.set _Z17flag_heads_kernelIth15custom_flag_op2ItELj256ELj7EEvPT_Px.numbered_sgpr, 9
	.set _Z17flag_heads_kernelIth15custom_flag_op2ItELj256ELj7EEvPT_Px.num_named_barrier, 0
	.set _Z17flag_heads_kernelIth15custom_flag_op2ItELj256ELj7EEvPT_Px.private_seg_size, 0
	.set _Z17flag_heads_kernelIth15custom_flag_op2ItELj256ELj7EEvPT_Px.uses_vcc, 1
	.set _Z17flag_heads_kernelIth15custom_flag_op2ItELj256ELj7EEvPT_Px.uses_flat_scratch, 0
	.set _Z17flag_heads_kernelIth15custom_flag_op2ItELj256ELj7EEvPT_Px.has_dyn_sized_stack, 0
	.set _Z17flag_heads_kernelIth15custom_flag_op2ItELj256ELj7EEvPT_Px.has_recursion, 0
	.set _Z17flag_heads_kernelIth15custom_flag_op2ItELj256ELj7EEvPT_Px.has_indirect_call, 0
	.section	.AMDGPU.csdata,"",@progbits
; Kernel info:
; codeLenInByte = 1152
; TotalNumSgprs: 11
; NumVgprs: 18
; ScratchSize: 0
; MemoryBound: 0
; FloatMode: 240
; IeeeMode: 1
; LDSByteSize: 1024 bytes/workgroup (compile time only)
; SGPRBlocks: 0
; VGPRBlocks: 1
; NumSGPRsForWavesPerEU: 11
; NumVGPRsForWavesPerEU: 18
; NamedBarCnt: 0
; Occupancy: 16
; WaveLimiterHint : 0
; COMPUTE_PGM_RSRC2:SCRATCH_EN: 0
; COMPUTE_PGM_RSRC2:USER_SGPR: 2
; COMPUTE_PGM_RSRC2:TRAP_HANDLER: 0
; COMPUTE_PGM_RSRC2:TGID_X_EN: 1
; COMPUTE_PGM_RSRC2:TGID_Y_EN: 0
; COMPUTE_PGM_RSRC2:TGID_Z_EN: 0
; COMPUTE_PGM_RSRC2:TIDIG_COMP_CNT: 0
	.section	.text._Z17flag_heads_kernelIisN10test_utils4lessELj128ELj4EEvPT_Px,"axG",@progbits,_Z17flag_heads_kernelIisN10test_utils4lessELj128ELj4EEvPT_Px,comdat
	.protected	_Z17flag_heads_kernelIisN10test_utils4lessELj128ELj4EEvPT_Px ; -- Begin function _Z17flag_heads_kernelIisN10test_utils4lessELj128ELj4EEvPT_Px
	.globl	_Z17flag_heads_kernelIisN10test_utils4lessELj128ELj4EEvPT_Px
	.p2align	8
	.type	_Z17flag_heads_kernelIisN10test_utils4lessELj128ELj4EEvPT_Px,@function
_Z17flag_heads_kernelIisN10test_utils4lessELj128ELj4EEvPT_Px: ; @_Z17flag_heads_kernelIisN10test_utils4lessELj128ELj4EEvPT_Px
; %bb.0:
	s_load_b128 s[0:3], s[0:1], 0x0
	s_bfe_u32 s4, ttmp6, 0x4000c
	s_and_b32 s5, ttmp6, 15
	s_add_co_i32 s4, s4, 1
	s_getreg_b32 s6, hwreg(HW_REG_IB_STS2, 6, 4)
	s_mul_i32 s4, ttmp9, s4
	v_lshlrev_b32_e32 v1, 4, v0
	s_add_co_i32 s5, s5, s4
	s_cmp_eq_u32 s6, 0
	v_cmp_ne_u32_e32 vcc_lo, 0, v0
	s_cselect_b32 s8, ttmp9, s5
	s_mov_b32 s5, 0
	s_lshl_b32 s4, s8, 9
	s_delay_alu instid0(SALU_CYCLE_1)
	s_lshl_b64 s[6:7], s[4:5], 2
	s_bitcmp0_b32 s8, 0
	s_wait_kmcnt 0x0
	s_add_nc_u64 s[6:7], s[0:1], s[6:7]
	s_clause 0x1
	global_load_b64 v[6:7], v1, s[6:7]
	global_load_b96 v[2:4], v1, s[6:7] offset:4
	s_wait_xcnt 0x0
	v_lshlrev_b32_e32 v1, 2, v0
	s_cbranch_scc1 .LBB8_4
; %bb.1:
	s_add_co_i32 s6, s4, -1
	s_wait_loadcnt 0x0
	ds_store_b32 v1, v4
	s_load_b32 s0, s[0:1], s6 offset:0x0 scale_offset
	s_wait_dscnt 0x0
	s_barrier_signal -1
	s_barrier_wait -1
	s_wait_kmcnt 0x0
	v_mov_b32_e32 v5, s0
	s_and_saveexec_b32 s0, vcc_lo
; %bb.2:
	v_add_nc_u32_e32 v5, -4, v1
	ds_load_b32 v5, v5
; %bb.3:
	s_or_b32 exec_lo, exec_lo, s0
	v_cmp_lt_i32_e32 vcc_lo, v4, v3
	v_cndmask_b32_e64 v8, 0, 1, vcc_lo
	s_wait_dscnt 0x0
	v_cmp_lt_i32_e32 vcc_lo, v6, v5
	v_cndmask_b32_e64 v5, 0, 1, vcc_lo
	v_cmp_lt_i32_e32 vcc_lo, v2, v6
	v_cndmask_b32_e64 v9, 0, 1, vcc_lo
	v_cmp_lt_i32_e32 vcc_lo, v3, v2
	s_delay_alu instid0(VALU_DEP_2) | instskip(SKIP_1) | instid1(VALU_DEP_1)
	v_perm_b32 v5, v9, v5, 0x5040100
	v_cndmask_b32_e64 v10, 0, 1, vcc_lo
	v_perm_b32 v8, v8, v10, 0x5040100
	s_branch .LBB8_8
.LBB8_4:
                                        ; implicit-def: $vgpr8
                                        ; implicit-def: $vgpr5
	s_cbranch_execz .LBB8_8
; %bb.5:
	s_wait_loadcnt 0x0
	v_cmp_lt_i32_e32 vcc_lo, v4, v3
	s_mov_b32 s0, exec_lo
	ds_store_b32 v1, v4
	s_wait_dscnt 0x0
	s_barrier_signal -1
	v_cndmask_b32_e64 v8, 0, 1, vcc_lo
	v_cmp_lt_i32_e32 vcc_lo, v2, v6
	s_barrier_wait -1
	v_cndmask_b32_e64 v2, 0, 1, vcc_lo
	v_cmp_lt_i32_e32 vcc_lo, v3, v7
	s_delay_alu instid0(VALU_DEP_2) | instskip(SKIP_1) | instid1(VALU_DEP_1)
	v_perm_b32 v5, v2, 1, 0x5040100
	v_cndmask_b32_e64 v3, 0, 1, vcc_lo
	v_perm_b32 v8, v8, v3, 0x5040100
	v_cmpx_ne_u32_e32 0, v0
	s_cbranch_execz .LBB8_7
; %bb.6:
	v_add_nc_u32_e32 v0, -4, v1
	ds_load_b32 v0, v0
	s_wait_dscnt 0x0
	v_cmp_lt_i32_e32 vcc_lo, v6, v0
	v_cndmask_b32_e64 v0, 0, 1, vcc_lo
	s_delay_alu instid0(VALU_DEP_1)
	v_bfi_b32 v5, 0xffff, v0, v5
.LBB8_7:
	s_or_b32 exec_lo, exec_lo, s0
.LBB8_8:
	s_wait_loadcnt 0x0
	s_delay_alu instid0(VALU_DEP_1) | instskip(SKIP_3) | instid1(VALU_DEP_4)
	v_dual_lshrrev_b32 v2, 16, v5 :: v_dual_lshrrev_b32 v3, 16, v8
	v_bfe_i32 v0, v5, 0, 16
	v_bfe_i32 v4, v8, 0, 16
	v_lshlrev_b32_e32 v8, 3, v1
	v_bfe_i32 v2, v2, 0, 16
	v_bfe_i32 v6, v3, 0, 16
	v_ashrrev_i32_e32 v1, 31, v0
	v_ashrrev_i32_e32 v5, 31, v4
	s_lshl_b64 s[0:1], s[4:5], 3
	v_ashrrev_i32_e32 v3, 31, v2
	v_ashrrev_i32_e32 v7, 31, v6
	s_add_nc_u64 s[0:1], s[2:3], s[0:1]
	s_clause 0x1
	global_store_b128 v8, v[0:3], s[0:1]
	global_store_b128 v8, v[4:7], s[0:1] offset:16
	s_endpgm
	.section	.rodata,"a",@progbits
	.p2align	6, 0x0
	.amdhsa_kernel _Z17flag_heads_kernelIisN10test_utils4lessELj128ELj4EEvPT_Px
		.amdhsa_group_segment_fixed_size 1024
		.amdhsa_private_segment_fixed_size 0
		.amdhsa_kernarg_size 16
		.amdhsa_user_sgpr_count 2
		.amdhsa_user_sgpr_dispatch_ptr 0
		.amdhsa_user_sgpr_queue_ptr 0
		.amdhsa_user_sgpr_kernarg_segment_ptr 1
		.amdhsa_user_sgpr_dispatch_id 0
		.amdhsa_user_sgpr_kernarg_preload_length 0
		.amdhsa_user_sgpr_kernarg_preload_offset 0
		.amdhsa_user_sgpr_private_segment_size 0
		.amdhsa_wavefront_size32 1
		.amdhsa_uses_dynamic_stack 0
		.amdhsa_enable_private_segment 0
		.amdhsa_system_sgpr_workgroup_id_x 1
		.amdhsa_system_sgpr_workgroup_id_y 0
		.amdhsa_system_sgpr_workgroup_id_z 0
		.amdhsa_system_sgpr_workgroup_info 0
		.amdhsa_system_vgpr_workitem_id 0
		.amdhsa_next_free_vgpr 11
		.amdhsa_next_free_sgpr 9
		.amdhsa_named_barrier_count 0
		.amdhsa_reserve_vcc 1
		.amdhsa_float_round_mode_32 0
		.amdhsa_float_round_mode_16_64 0
		.amdhsa_float_denorm_mode_32 3
		.amdhsa_float_denorm_mode_16_64 3
		.amdhsa_fp16_overflow 0
		.amdhsa_memory_ordered 1
		.amdhsa_forward_progress 1
		.amdhsa_inst_pref_size 5
		.amdhsa_round_robin_scheduling 0
		.amdhsa_exception_fp_ieee_invalid_op 0
		.amdhsa_exception_fp_denorm_src 0
		.amdhsa_exception_fp_ieee_div_zero 0
		.amdhsa_exception_fp_ieee_overflow 0
		.amdhsa_exception_fp_ieee_underflow 0
		.amdhsa_exception_fp_ieee_inexact 0
		.amdhsa_exception_int_div_zero 0
	.end_amdhsa_kernel
	.section	.text._Z17flag_heads_kernelIisN10test_utils4lessELj128ELj4EEvPT_Px,"axG",@progbits,_Z17flag_heads_kernelIisN10test_utils4lessELj128ELj4EEvPT_Px,comdat
.Lfunc_end8:
	.size	_Z17flag_heads_kernelIisN10test_utils4lessELj128ELj4EEvPT_Px, .Lfunc_end8-_Z17flag_heads_kernelIisN10test_utils4lessELj128ELj4EEvPT_Px
                                        ; -- End function
	.set _Z17flag_heads_kernelIisN10test_utils4lessELj128ELj4EEvPT_Px.num_vgpr, 11
	.set _Z17flag_heads_kernelIisN10test_utils4lessELj128ELj4EEvPT_Px.num_agpr, 0
	.set _Z17flag_heads_kernelIisN10test_utils4lessELj128ELj4EEvPT_Px.numbered_sgpr, 9
	.set _Z17flag_heads_kernelIisN10test_utils4lessELj128ELj4EEvPT_Px.num_named_barrier, 0
	.set _Z17flag_heads_kernelIisN10test_utils4lessELj128ELj4EEvPT_Px.private_seg_size, 0
	.set _Z17flag_heads_kernelIisN10test_utils4lessELj128ELj4EEvPT_Px.uses_vcc, 1
	.set _Z17flag_heads_kernelIisN10test_utils4lessELj128ELj4EEvPT_Px.uses_flat_scratch, 0
	.set _Z17flag_heads_kernelIisN10test_utils4lessELj128ELj4EEvPT_Px.has_dyn_sized_stack, 0
	.set _Z17flag_heads_kernelIisN10test_utils4lessELj128ELj4EEvPT_Px.has_recursion, 0
	.set _Z17flag_heads_kernelIisN10test_utils4lessELj128ELj4EEvPT_Px.has_indirect_call, 0
	.section	.AMDGPU.csdata,"",@progbits
; Kernel info:
; codeLenInByte = 532
; TotalNumSgprs: 11
; NumVgprs: 11
; ScratchSize: 0
; MemoryBound: 0
; FloatMode: 240
; IeeeMode: 1
; LDSByteSize: 1024 bytes/workgroup (compile time only)
; SGPRBlocks: 0
; VGPRBlocks: 0
; NumSGPRsForWavesPerEU: 11
; NumVGPRsForWavesPerEU: 11
; NamedBarCnt: 0
; Occupancy: 16
; WaveLimiterHint : 0
; COMPUTE_PGM_RSRC2:SCRATCH_EN: 0
; COMPUTE_PGM_RSRC2:USER_SGPR: 2
; COMPUTE_PGM_RSRC2:TRAP_HANDLER: 0
; COMPUTE_PGM_RSRC2:TGID_X_EN: 1
; COMPUTE_PGM_RSRC2:TGID_Y_EN: 0
; COMPUTE_PGM_RSRC2:TGID_Z_EN: 0
; COMPUTE_PGM_RSRC2:TIDIG_COMP_CNT: 0
	.section	.text._Z17flag_heads_kernelIic15custom_flag_op2IiELj64ELj2EEvPT_Px,"axG",@progbits,_Z17flag_heads_kernelIic15custom_flag_op2IiELj64ELj2EEvPT_Px,comdat
	.protected	_Z17flag_heads_kernelIic15custom_flag_op2IiELj64ELj2EEvPT_Px ; -- Begin function _Z17flag_heads_kernelIic15custom_flag_op2IiELj64ELj2EEvPT_Px
	.globl	_Z17flag_heads_kernelIic15custom_flag_op2IiELj64ELj2EEvPT_Px
	.p2align	8
	.type	_Z17flag_heads_kernelIic15custom_flag_op2IiELj64ELj2EEvPT_Px,@function
_Z17flag_heads_kernelIic15custom_flag_op2IiELj64ELj2EEvPT_Px: ; @_Z17flag_heads_kernelIic15custom_flag_op2IiELj64ELj2EEvPT_Px
; %bb.0:
	s_load_b128 s[0:3], s[0:1], 0x0
	s_bfe_u32 s4, ttmp6, 0x4000c
	s_and_b32 s5, ttmp6, 15
	s_add_co_i32 s4, s4, 1
	s_getreg_b32 s6, hwreg(HW_REG_IB_STS2, 6, 4)
	s_mul_i32 s4, ttmp9, s4
	v_dual_lshlrev_b32 v1, 1, v0 :: v_dual_lshlrev_b32 v4, 2, v0
	s_add_co_i32 s5, s5, s4
	s_cmp_eq_u32 s6, 0
	v_cmp_ne_u32_e32 vcc_lo, 0, v0
	s_cselect_b32 s8, ttmp9, s5
	s_mov_b32 s5, 0
	s_lshl_b32 s4, s8, 7
	s_delay_alu instid0(SALU_CYCLE_1)
	s_lshl_b64 s[6:7], s[4:5], 2
	s_bitcmp0_b32 s8, 0
	s_wait_kmcnt 0x0
	s_add_nc_u64 s[6:7], s[0:1], s[6:7]
	global_load_b64 v[2:3], v0, s[6:7] scale_offset
	s_cbranch_scc1 .LBB9_4
; %bb.1:
	s_wait_xcnt 0x0
	s_add_co_i32 s6, s4, -1
	s_wait_loadcnt 0x0
	ds_store_b32 v4, v3
	s_load_b32 s0, s[0:1], s6 offset:0x0 scale_offset
	s_wait_dscnt 0x0
	s_barrier_signal -1
	s_barrier_wait -1
	s_wait_kmcnt 0x0
	v_mov_b32_e32 v5, s0
	s_and_saveexec_b32 s0, vcc_lo
; %bb.2:
	v_add_nc_u32_e32 v5, -4, v4
	ds_load_b32 v5, v5
; %bb.3:
	s_or_b32 exec_lo, exec_lo, s0
	s_wait_dscnt 0x0
	v_dual_sub_nc_u32 v6, v3, v2 :: v_dual_sub_nc_u32 v5, v2, v5
	s_delay_alu instid0(VALU_DEP_1) | instskip(SKIP_1) | instid1(VALU_DEP_3)
	v_cmp_lt_i32_e32 vcc_lo, 5, v6
	v_cndmask_b32_e64 v6, 0, 1, vcc_lo
	v_cmp_lt_i32_e32 vcc_lo, 5, v5
	s_delay_alu instid0(VALU_DEP_2) | instskip(SKIP_1) | instid1(VALU_DEP_1)
	v_lshlrev_b16 v6, 8, v6
	v_cndmask_b32_e64 v5, 0, 1, vcc_lo
	v_or_b32_e32 v5, v5, v6
	s_delay_alu instid0(VALU_DEP_1)
	v_and_b32_e32 v5, 0xffff, v5
	s_branch .LBB9_8
.LBB9_4:
                                        ; implicit-def: $vgpr5
	s_cbranch_execz .LBB9_8
; %bb.5:
	s_wait_loadcnt 0x0
	v_sub_nc_u32_e32 v5, v3, v2
	s_mov_b32 s0, exec_lo
	ds_store_b32 v4, v3
	s_wait_dscnt 0x0
	s_barrier_signal -1
	v_cmp_lt_i32_e32 vcc_lo, 5, v5
	s_barrier_wait -1
	v_cndmask_b32_e64 v5, 0, 1, vcc_lo
	s_delay_alu instid0(VALU_DEP_1) | instskip(NEXT) | instid1(VALU_DEP_1)
	v_lshlrev_b16 v5, 8, v5
	v_or_b32_e32 v5, 1, v5
	s_delay_alu instid0(VALU_DEP_1)
	v_and_b32_e32 v5, 0xffff, v5
	v_cmpx_ne_u32_e32 0, v0
	s_cbranch_execz .LBB9_7
; %bb.6:
	v_add_nc_u32_e32 v0, -4, v4
	ds_load_b32 v0, v0
	s_wait_dscnt 0x0
	v_sub_nc_u32_e32 v0, v2, v0
	s_delay_alu instid0(VALU_DEP_1) | instskip(SKIP_1) | instid1(VALU_DEP_1)
	v_cmp_lt_i32_e32 vcc_lo, 5, v0
	v_cndmask_b32_e64 v0, 0, 1, vcc_lo
	v_bitop3_b16 v0, v0, v5, 0x100 bitop3:0xf8
	s_delay_alu instid0(VALU_DEP_1)
	v_and_b32_e32 v5, 0xffff, v0
.LBB9_7:
	s_or_b32 exec_lo, exec_lo, s0
.LBB9_8:
	s_wait_loadcnt 0x0
	s_delay_alu instid0(VALU_DEP_1) | instskip(SKIP_3) | instid1(SALU_CYCLE_1)
	v_lshrrev_b16 v2, 8, v5
	v_bfe_i32 v0, v5, 0, 8
	v_lshlrev_b32_e32 v4, 3, v1
	s_lshl_b64 s[0:1], s[4:5], 3
	s_add_nc_u64 s[0:1], s[2:3], s[0:1]
	v_bfe_i32 v2, v2, 0, 8
	s_delay_alu instid0(VALU_DEP_1)
	v_dual_ashrrev_i32 v1, 31, v0 :: v_dual_ashrrev_i32 v3, 31, v2
	global_store_b128 v4, v[0:3], s[0:1]
	s_endpgm
	.section	.rodata,"a",@progbits
	.p2align	6, 0x0
	.amdhsa_kernel _Z17flag_heads_kernelIic15custom_flag_op2IiELj64ELj2EEvPT_Px
		.amdhsa_group_segment_fixed_size 512
		.amdhsa_private_segment_fixed_size 0
		.amdhsa_kernarg_size 16
		.amdhsa_user_sgpr_count 2
		.amdhsa_user_sgpr_dispatch_ptr 0
		.amdhsa_user_sgpr_queue_ptr 0
		.amdhsa_user_sgpr_kernarg_segment_ptr 1
		.amdhsa_user_sgpr_dispatch_id 0
		.amdhsa_user_sgpr_kernarg_preload_length 0
		.amdhsa_user_sgpr_kernarg_preload_offset 0
		.amdhsa_user_sgpr_private_segment_size 0
		.amdhsa_wavefront_size32 1
		.amdhsa_uses_dynamic_stack 0
		.amdhsa_enable_private_segment 0
		.amdhsa_system_sgpr_workgroup_id_x 1
		.amdhsa_system_sgpr_workgroup_id_y 0
		.amdhsa_system_sgpr_workgroup_id_z 0
		.amdhsa_system_sgpr_workgroup_info 0
		.amdhsa_system_vgpr_workitem_id 0
		.amdhsa_next_free_vgpr 7
		.amdhsa_next_free_sgpr 9
		.amdhsa_named_barrier_count 0
		.amdhsa_reserve_vcc 1
		.amdhsa_float_round_mode_32 0
		.amdhsa_float_round_mode_16_64 0
		.amdhsa_float_denorm_mode_32 3
		.amdhsa_float_denorm_mode_16_64 3
		.amdhsa_fp16_overflow 0
		.amdhsa_memory_ordered 1
		.amdhsa_forward_progress 1
		.amdhsa_inst_pref_size 4
		.amdhsa_round_robin_scheduling 0
		.amdhsa_exception_fp_ieee_invalid_op 0
		.amdhsa_exception_fp_denorm_src 0
		.amdhsa_exception_fp_ieee_div_zero 0
		.amdhsa_exception_fp_ieee_overflow 0
		.amdhsa_exception_fp_ieee_underflow 0
		.amdhsa_exception_fp_ieee_inexact 0
		.amdhsa_exception_int_div_zero 0
	.end_amdhsa_kernel
	.section	.text._Z17flag_heads_kernelIic15custom_flag_op2IiELj64ELj2EEvPT_Px,"axG",@progbits,_Z17flag_heads_kernelIic15custom_flag_op2IiELj64ELj2EEvPT_Px,comdat
.Lfunc_end9:
	.size	_Z17flag_heads_kernelIic15custom_flag_op2IiELj64ELj2EEvPT_Px, .Lfunc_end9-_Z17flag_heads_kernelIic15custom_flag_op2IiELj64ELj2EEvPT_Px
                                        ; -- End function
	.set _Z17flag_heads_kernelIic15custom_flag_op2IiELj64ELj2EEvPT_Px.num_vgpr, 7
	.set _Z17flag_heads_kernelIic15custom_flag_op2IiELj64ELj2EEvPT_Px.num_agpr, 0
	.set _Z17flag_heads_kernelIic15custom_flag_op2IiELj64ELj2EEvPT_Px.numbered_sgpr, 9
	.set _Z17flag_heads_kernelIic15custom_flag_op2IiELj64ELj2EEvPT_Px.num_named_barrier, 0
	.set _Z17flag_heads_kernelIic15custom_flag_op2IiELj64ELj2EEvPT_Px.private_seg_size, 0
	.set _Z17flag_heads_kernelIic15custom_flag_op2IiELj64ELj2EEvPT_Px.uses_vcc, 1
	.set _Z17flag_heads_kernelIic15custom_flag_op2IiELj64ELj2EEvPT_Px.uses_flat_scratch, 0
	.set _Z17flag_heads_kernelIic15custom_flag_op2IiELj64ELj2EEvPT_Px.has_dyn_sized_stack, 0
	.set _Z17flag_heads_kernelIic15custom_flag_op2IiELj64ELj2EEvPT_Px.has_recursion, 0
	.set _Z17flag_heads_kernelIic15custom_flag_op2IiELj64ELj2EEvPT_Px.has_indirect_call, 0
	.section	.AMDGPU.csdata,"",@progbits
; Kernel info:
; codeLenInByte = 472
; TotalNumSgprs: 11
; NumVgprs: 7
; ScratchSize: 0
; MemoryBound: 0
; FloatMode: 240
; IeeeMode: 1
; LDSByteSize: 512 bytes/workgroup (compile time only)
; SGPRBlocks: 0
; VGPRBlocks: 0
; NumSGPRsForWavesPerEU: 11
; NumVGPRsForWavesPerEU: 7
; NamedBarCnt: 0
; Occupancy: 16
; WaveLimiterHint : 0
; COMPUTE_PGM_RSRC2:SCRATCH_EN: 0
; COMPUTE_PGM_RSRC2:USER_SGPR: 2
; COMPUTE_PGM_RSRC2:TRAP_HANDLER: 0
; COMPUTE_PGM_RSRC2:TGID_X_EN: 1
; COMPUTE_PGM_RSRC2:TGID_Y_EN: 0
; COMPUTE_PGM_RSRC2:TGID_Z_EN: 0
; COMPUTE_PGM_RSRC2:TIDIG_COMP_CNT: 0
	.section	.text._Z17flag_heads_kernelIhbN6hipcub8EqualityELj255ELj1EEvPT_Px,"axG",@progbits,_Z17flag_heads_kernelIhbN6hipcub8EqualityELj255ELj1EEvPT_Px,comdat
	.protected	_Z17flag_heads_kernelIhbN6hipcub8EqualityELj255ELj1EEvPT_Px ; -- Begin function _Z17flag_heads_kernelIhbN6hipcub8EqualityELj255ELj1EEvPT_Px
	.globl	_Z17flag_heads_kernelIhbN6hipcub8EqualityELj255ELj1EEvPT_Px
	.p2align	8
	.type	_Z17flag_heads_kernelIhbN6hipcub8EqualityELj255ELj1EEvPT_Px,@function
_Z17flag_heads_kernelIhbN6hipcub8EqualityELj255ELj1EEvPT_Px: ; @_Z17flag_heads_kernelIhbN6hipcub8EqualityELj255ELj1EEvPT_Px
; %bb.0:
	s_load_b128 s[0:3], s[0:1], 0x0
	s_bfe_u32 s4, ttmp6, 0x4000c
	s_and_b32 s5, ttmp6, 15
	s_add_co_i32 s4, s4, 1
	s_getreg_b32 s6, hwreg(HW_REG_IB_STS2, 6, 4)
	s_mul_i32 s4, ttmp9, s4
	v_cmp_ne_u32_e32 vcc_lo, 0, v0
	s_add_co_i32 s5, s5, s4
	s_cmp_eq_u32 s6, 0
	s_cselect_b32 s8, ttmp9, s5
	s_mov_b32 s5, 0
	s_mul_i32 s4, s8, 0xff
	s_bitcmp0_b32 s8, 0
	s_wait_kmcnt 0x0
	s_add_nc_u64 s[6:7], s[0:1], s[4:5]
	global_load_u8 v1, v0, s[6:7]
	s_cbranch_scc1 .LBB10_4
; %bb.1:
	s_wait_xcnt 0x0
	s_add_co_i32 s6, s4, -1
	s_wait_loadcnt 0x0
	ds_store_b8 v0, v1
	v_mov_b32_e32 v2, s6
	global_load_u8 v2, v2, s[0:1]
	s_wait_loadcnt_dscnt 0x0
	s_barrier_signal -1
	s_barrier_wait -1
	s_and_saveexec_b32 s0, vcc_lo
; %bb.2:
	v_add_nc_u32_e32 v2, -1, v0
	ds_load_u8 v2, v2
; %bb.3:
	s_or_b32 exec_lo, exec_lo, s0
	s_wait_dscnt 0x0
	v_and_b32_e32 v2, 0xff, v2
	v_and_b32_e32 v3, 0xff, v1
	s_delay_alu instid0(VALU_DEP_1)
	v_cmp_eq_u16_e64 s0, v3, v2
	s_branch .LBB10_8
.LBB10_4:
                                        ; implicit-def: $sgpr0
	s_cbranch_execz .LBB10_8
; %bb.5:
	s_mov_b32 s0, -1
	s_mov_b32 s1, exec_lo
	s_wait_loadcnt 0x0
	ds_store_b8 v0, v1
	s_wait_dscnt 0x0
	s_barrier_signal -1
	s_barrier_wait -1
	v_cmpx_ne_u32_e32 0, v0
	s_cbranch_execz .LBB10_7
; %bb.6:
	v_add_nc_u32_e32 v2, -1, v0
	v_and_b32_e32 v1, 0xff, v1
	ds_load_u8 v2, v2
	s_wait_dscnt 0x0
	v_cmp_eq_u16_e32 vcc_lo, v1, v2
	s_or_not1_b32 s0, vcc_lo, exec_lo
.LBB10_7:
	s_or_b32 exec_lo, exec_lo, s1
.LBB10_8:
	s_mov_b32 s1, 0
	s_delay_alu instid0(VALU_DEP_1) | instskip(SKIP_2) | instid1(SALU_CYCLE_1)
	v_cndmask_b32_e64 v2, 0, 1, s0
	v_mov_b32_e32 v3, s1
	s_lshl_b64 s[0:1], s[4:5], 3
	s_add_nc_u64 s[0:1], s[2:3], s[0:1]
	global_store_b64 v0, v[2:3], s[0:1] scale_offset
	s_endpgm
	.section	.rodata,"a",@progbits
	.p2align	6, 0x0
	.amdhsa_kernel _Z17flag_heads_kernelIhbN6hipcub8EqualityELj255ELj1EEvPT_Px
		.amdhsa_group_segment_fixed_size 510
		.amdhsa_private_segment_fixed_size 0
		.amdhsa_kernarg_size 16
		.amdhsa_user_sgpr_count 2
		.amdhsa_user_sgpr_dispatch_ptr 0
		.amdhsa_user_sgpr_queue_ptr 0
		.amdhsa_user_sgpr_kernarg_segment_ptr 1
		.amdhsa_user_sgpr_dispatch_id 0
		.amdhsa_user_sgpr_kernarg_preload_length 0
		.amdhsa_user_sgpr_kernarg_preload_offset 0
		.amdhsa_user_sgpr_private_segment_size 0
		.amdhsa_wavefront_size32 1
		.amdhsa_uses_dynamic_stack 0
		.amdhsa_enable_private_segment 0
		.amdhsa_system_sgpr_workgroup_id_x 1
		.amdhsa_system_sgpr_workgroup_id_y 0
		.amdhsa_system_sgpr_workgroup_id_z 0
		.amdhsa_system_sgpr_workgroup_info 0
		.amdhsa_system_vgpr_workitem_id 0
		.amdhsa_next_free_vgpr 4
		.amdhsa_next_free_sgpr 9
		.amdhsa_named_barrier_count 0
		.amdhsa_reserve_vcc 1
		.amdhsa_float_round_mode_32 0
		.amdhsa_float_round_mode_16_64 0
		.amdhsa_float_denorm_mode_32 3
		.amdhsa_float_denorm_mode_16_64 3
		.amdhsa_fp16_overflow 0
		.amdhsa_memory_ordered 1
		.amdhsa_forward_progress 1
		.amdhsa_inst_pref_size 3
		.amdhsa_round_robin_scheduling 0
		.amdhsa_exception_fp_ieee_invalid_op 0
		.amdhsa_exception_fp_denorm_src 0
		.amdhsa_exception_fp_ieee_div_zero 0
		.amdhsa_exception_fp_ieee_overflow 0
		.amdhsa_exception_fp_ieee_underflow 0
		.amdhsa_exception_fp_ieee_inexact 0
		.amdhsa_exception_int_div_zero 0
	.end_amdhsa_kernel
	.section	.text._Z17flag_heads_kernelIhbN6hipcub8EqualityELj255ELj1EEvPT_Px,"axG",@progbits,_Z17flag_heads_kernelIhbN6hipcub8EqualityELj255ELj1EEvPT_Px,comdat
.Lfunc_end10:
	.size	_Z17flag_heads_kernelIhbN6hipcub8EqualityELj255ELj1EEvPT_Px, .Lfunc_end10-_Z17flag_heads_kernelIhbN6hipcub8EqualityELj255ELj1EEvPT_Px
                                        ; -- End function
	.set _Z17flag_heads_kernelIhbN6hipcub8EqualityELj255ELj1EEvPT_Px.num_vgpr, 4
	.set _Z17flag_heads_kernelIhbN6hipcub8EqualityELj255ELj1EEvPT_Px.num_agpr, 0
	.set _Z17flag_heads_kernelIhbN6hipcub8EqualityELj255ELj1EEvPT_Px.numbered_sgpr, 9
	.set _Z17flag_heads_kernelIhbN6hipcub8EqualityELj255ELj1EEvPT_Px.num_named_barrier, 0
	.set _Z17flag_heads_kernelIhbN6hipcub8EqualityELj255ELj1EEvPT_Px.private_seg_size, 0
	.set _Z17flag_heads_kernelIhbN6hipcub8EqualityELj255ELj1EEvPT_Px.uses_vcc, 1
	.set _Z17flag_heads_kernelIhbN6hipcub8EqualityELj255ELj1EEvPT_Px.uses_flat_scratch, 0
	.set _Z17flag_heads_kernelIhbN6hipcub8EqualityELj255ELj1EEvPT_Px.has_dyn_sized_stack, 0
	.set _Z17flag_heads_kernelIhbN6hipcub8EqualityELj255ELj1EEvPT_Px.has_recursion, 0
	.set _Z17flag_heads_kernelIhbN6hipcub8EqualityELj255ELj1EEvPT_Px.has_indirect_call, 0
	.section	.AMDGPU.csdata,"",@progbits
; Kernel info:
; codeLenInByte = 316
; TotalNumSgprs: 11
; NumVgprs: 4
; ScratchSize: 0
; MemoryBound: 0
; FloatMode: 240
; IeeeMode: 1
; LDSByteSize: 510 bytes/workgroup (compile time only)
; SGPRBlocks: 0
; VGPRBlocks: 0
; NumSGPRsForWavesPerEU: 11
; NumVGPRsForWavesPerEU: 4
; NamedBarCnt: 0
; Occupancy: 16
; WaveLimiterHint : 0
; COMPUTE_PGM_RSRC2:SCRATCH_EN: 0
; COMPUTE_PGM_RSRC2:USER_SGPR: 2
; COMPUTE_PGM_RSRC2:TRAP_HANDLER: 0
; COMPUTE_PGM_RSRC2:TGID_X_EN: 1
; COMPUTE_PGM_RSRC2:TGID_Y_EN: 0
; COMPUTE_PGM_RSRC2:TGID_Z_EN: 0
; COMPUTE_PGM_RSRC2:TIDIG_COMP_CNT: 0
	.section	.text._Z17flag_heads_kernelIjxN6hipcub10InequalityELj162ELj1EEvPT_Px,"axG",@progbits,_Z17flag_heads_kernelIjxN6hipcub10InequalityELj162ELj1EEvPT_Px,comdat
	.protected	_Z17flag_heads_kernelIjxN6hipcub10InequalityELj162ELj1EEvPT_Px ; -- Begin function _Z17flag_heads_kernelIjxN6hipcub10InequalityELj162ELj1EEvPT_Px
	.globl	_Z17flag_heads_kernelIjxN6hipcub10InequalityELj162ELj1EEvPT_Px
	.p2align	8
	.type	_Z17flag_heads_kernelIjxN6hipcub10InequalityELj162ELj1EEvPT_Px,@function
_Z17flag_heads_kernelIjxN6hipcub10InequalityELj162ELj1EEvPT_Px: ; @_Z17flag_heads_kernelIjxN6hipcub10InequalityELj162ELj1EEvPT_Px
; %bb.0:
	s_load_b128 s[0:3], s[0:1], 0x0
	s_bfe_u32 s4, ttmp6, 0x4000c
	s_and_b32 s5, ttmp6, 15
	s_add_co_i32 s4, s4, 1
	s_getreg_b32 s6, hwreg(HW_REG_IB_STS2, 6, 4)
	s_mul_i32 s4, ttmp9, s4
	v_lshlrev_b32_e32 v2, 2, v0
	s_add_co_i32 s5, s5, s4
	s_cmp_eq_u32 s6, 0
	v_cmp_ne_u32_e32 vcc_lo, 0, v0
	s_cselect_b32 s8, ttmp9, s5
	s_mov_b32 s5, 0
	s_mul_i32 s4, s8, 0xa2
	s_delay_alu instid0(SALU_CYCLE_1)
	s_lshl_b64 s[6:7], s[4:5], 2
	s_bitcmp0_b32 s8, 0
	s_wait_kmcnt 0x0
	s_add_nc_u64 s[6:7], s[0:1], s[6:7]
	global_load_b32 v1, v0, s[6:7] scale_offset
	s_cbranch_scc1 .LBB11_4
; %bb.1:
	s_wait_xcnt 0x0
	s_add_co_i32 s6, s4, -1
	s_wait_loadcnt 0x0
	ds_store_b32 v2, v1
	s_load_b32 s0, s[0:1], s6 offset:0x0 scale_offset
	s_wait_dscnt 0x0
	s_barrier_signal -1
	s_barrier_wait -1
	s_wait_kmcnt 0x0
	v_mov_b32_e32 v3, s0
	s_and_saveexec_b32 s0, vcc_lo
; %bb.2:
	v_add_nc_u32_e32 v3, -4, v2
	ds_load_b32 v3, v3
; %bb.3:
	s_or_b32 exec_lo, exec_lo, s0
	s_wait_dscnt 0x0
	v_cmp_ne_u32_e64 s0, v1, v3
	s_branch .LBB11_8
.LBB11_4:
                                        ; implicit-def: $sgpr0
	s_cbranch_execz .LBB11_8
; %bb.5:
	s_mov_b32 s0, -1
	s_mov_b32 s1, exec_lo
	s_wait_loadcnt 0x0
	ds_store_b32 v2, v1
	s_wait_dscnt 0x0
	s_barrier_signal -1
	s_barrier_wait -1
	v_cmpx_ne_u32_e32 0, v0
	s_cbranch_execz .LBB11_7
; %bb.6:
	v_add_nc_u32_e32 v2, -4, v2
	ds_load_b32 v2, v2
	s_wait_dscnt 0x0
	v_cmp_ne_u32_e32 vcc_lo, v1, v2
	s_or_not1_b32 s0, vcc_lo, exec_lo
.LBB11_7:
	s_or_b32 exec_lo, exec_lo, s1
.LBB11_8:
	s_mov_b32 s1, 0
	s_delay_alu instid0(VALU_DEP_1) | instskip(SKIP_2) | instid1(SALU_CYCLE_1)
	v_cndmask_b32_e64 v2, 0, 1, s0
	v_mov_b32_e32 v3, s1
	s_lshl_b64 s[0:1], s[4:5], 3
	s_add_nc_u64 s[0:1], s[2:3], s[0:1]
	global_store_b64 v0, v[2:3], s[0:1] scale_offset
	s_endpgm
	.section	.rodata,"a",@progbits
	.p2align	6, 0x0
	.amdhsa_kernel _Z17flag_heads_kernelIjxN6hipcub10InequalityELj162ELj1EEvPT_Px
		.amdhsa_group_segment_fixed_size 1296
		.amdhsa_private_segment_fixed_size 0
		.amdhsa_kernarg_size 16
		.amdhsa_user_sgpr_count 2
		.amdhsa_user_sgpr_dispatch_ptr 0
		.amdhsa_user_sgpr_queue_ptr 0
		.amdhsa_user_sgpr_kernarg_segment_ptr 1
		.amdhsa_user_sgpr_dispatch_id 0
		.amdhsa_user_sgpr_kernarg_preload_length 0
		.amdhsa_user_sgpr_kernarg_preload_offset 0
		.amdhsa_user_sgpr_private_segment_size 0
		.amdhsa_wavefront_size32 1
		.amdhsa_uses_dynamic_stack 0
		.amdhsa_enable_private_segment 0
		.amdhsa_system_sgpr_workgroup_id_x 1
		.amdhsa_system_sgpr_workgroup_id_y 0
		.amdhsa_system_sgpr_workgroup_id_z 0
		.amdhsa_system_sgpr_workgroup_info 0
		.amdhsa_system_vgpr_workitem_id 0
		.amdhsa_next_free_vgpr 4
		.amdhsa_next_free_sgpr 9
		.amdhsa_named_barrier_count 0
		.amdhsa_reserve_vcc 1
		.amdhsa_float_round_mode_32 0
		.amdhsa_float_round_mode_16_64 0
		.amdhsa_float_denorm_mode_32 3
		.amdhsa_float_denorm_mode_16_64 3
		.amdhsa_fp16_overflow 0
		.amdhsa_memory_ordered 1
		.amdhsa_forward_progress 1
		.amdhsa_inst_pref_size 3
		.amdhsa_round_robin_scheduling 0
		.amdhsa_exception_fp_ieee_invalid_op 0
		.amdhsa_exception_fp_denorm_src 0
		.amdhsa_exception_fp_ieee_div_zero 0
		.amdhsa_exception_fp_ieee_overflow 0
		.amdhsa_exception_fp_ieee_underflow 0
		.amdhsa_exception_fp_ieee_inexact 0
		.amdhsa_exception_int_div_zero 0
	.end_amdhsa_kernel
	.section	.text._Z17flag_heads_kernelIjxN6hipcub10InequalityELj162ELj1EEvPT_Px,"axG",@progbits,_Z17flag_heads_kernelIjxN6hipcub10InequalityELj162ELj1EEvPT_Px,comdat
.Lfunc_end11:
	.size	_Z17flag_heads_kernelIjxN6hipcub10InequalityELj162ELj1EEvPT_Px, .Lfunc_end11-_Z17flag_heads_kernelIjxN6hipcub10InequalityELj162ELj1EEvPT_Px
                                        ; -- End function
	.set _Z17flag_heads_kernelIjxN6hipcub10InequalityELj162ELj1EEvPT_Px.num_vgpr, 4
	.set _Z17flag_heads_kernelIjxN6hipcub10InequalityELj162ELj1EEvPT_Px.num_agpr, 0
	.set _Z17flag_heads_kernelIjxN6hipcub10InequalityELj162ELj1EEvPT_Px.numbered_sgpr, 9
	.set _Z17flag_heads_kernelIjxN6hipcub10InequalityELj162ELj1EEvPT_Px.num_named_barrier, 0
	.set _Z17flag_heads_kernelIjxN6hipcub10InequalityELj162ELj1EEvPT_Px.private_seg_size, 0
	.set _Z17flag_heads_kernelIjxN6hipcub10InequalityELj162ELj1EEvPT_Px.uses_vcc, 1
	.set _Z17flag_heads_kernelIjxN6hipcub10InequalityELj162ELj1EEvPT_Px.uses_flat_scratch, 0
	.set _Z17flag_heads_kernelIjxN6hipcub10InequalityELj162ELj1EEvPT_Px.has_dyn_sized_stack, 0
	.set _Z17flag_heads_kernelIjxN6hipcub10InequalityELj162ELj1EEvPT_Px.has_recursion, 0
	.set _Z17flag_heads_kernelIjxN6hipcub10InequalityELj162ELj1EEvPT_Px.has_indirect_call, 0
	.section	.AMDGPU.csdata,"",@progbits
; Kernel info:
; codeLenInByte = 300
; TotalNumSgprs: 11
; NumVgprs: 4
; ScratchSize: 0
; MemoryBound: 0
; FloatMode: 240
; IeeeMode: 1
; LDSByteSize: 1296 bytes/workgroup (compile time only)
; SGPRBlocks: 0
; VGPRBlocks: 0
; NumSGPRsForWavesPerEU: 11
; NumVGPRsForWavesPerEU: 4
; NamedBarCnt: 0
; Occupancy: 16
; WaveLimiterHint : 0
; COMPUTE_PGM_RSRC2:SCRATCH_EN: 0
; COMPUTE_PGM_RSRC2:USER_SGPR: 2
; COMPUTE_PGM_RSRC2:TRAP_HANDLER: 0
; COMPUTE_PGM_RSRC2:TGID_X_EN: 1
; COMPUTE_PGM_RSRC2:TGID_Y_EN: 0
; COMPUTE_PGM_RSRC2:TGID_Z_EN: 0
; COMPUTE_PGM_RSRC2:TIDIG_COMP_CNT: 0
	.section	.text._Z17flag_heads_kernelIxcN10test_utils13greater_equalELj510ELj1EEvPT_Px,"axG",@progbits,_Z17flag_heads_kernelIxcN10test_utils13greater_equalELj510ELj1EEvPT_Px,comdat
	.protected	_Z17flag_heads_kernelIxcN10test_utils13greater_equalELj510ELj1EEvPT_Px ; -- Begin function _Z17flag_heads_kernelIxcN10test_utils13greater_equalELj510ELj1EEvPT_Px
	.globl	_Z17flag_heads_kernelIxcN10test_utils13greater_equalELj510ELj1EEvPT_Px
	.p2align	8
	.type	_Z17flag_heads_kernelIxcN10test_utils13greater_equalELj510ELj1EEvPT_Px,@function
_Z17flag_heads_kernelIxcN10test_utils13greater_equalELj510ELj1EEvPT_Px: ; @_Z17flag_heads_kernelIxcN10test_utils13greater_equalELj510ELj1EEvPT_Px
; %bb.0:
	s_load_b128 s[0:3], s[0:1], 0x0
	s_bfe_u32 s4, ttmp6, 0x4000c
	s_and_b32 s5, ttmp6, 15
	s_add_co_i32 s4, s4, 1
	s_getreg_b32 s6, hwreg(HW_REG_IB_STS2, 6, 4)
	s_mul_i32 s4, ttmp9, s4
	s_mov_b32 s7, 0
	s_add_co_i32 s5, s5, s4
	s_cmp_eq_u32 s6, 0
	v_lshlrev_b32_e32 v1, 3, v0
	s_cselect_b32 s10, ttmp9, s5
	v_cmp_ne_u32_e32 vcc_lo, 0, v0
	s_mul_i32 s6, s10, 0x1fe
	s_delay_alu instid0(SALU_CYCLE_1)
	s_lshl_b64 s[4:5], s[6:7], 3
	s_bitcmp0_b32 s10, 0
	s_wait_kmcnt 0x0
	s_add_nc_u64 s[8:9], s[0:1], s[4:5]
	global_load_b64 v[2:3], v0, s[8:9] scale_offset
	s_cbranch_scc1 .LBB12_4
; %bb.1:
	s_add_co_i32 s6, s6, -1
	s_wait_loadcnt 0x0
	ds_store_b64 v1, v[2:3]
	s_load_b64 s[0:1], s[0:1], s6 offset:0x0 scale_offset
	s_wait_dscnt 0x0
	s_barrier_signal -1
	s_barrier_wait -1
	s_wait_kmcnt 0x0
	v_mov_b64_e32 v[4:5], s[0:1]
	s_and_saveexec_b32 s0, vcc_lo
; %bb.2:
	v_add_nc_u32_e32 v4, -8, v1
	ds_load_b64 v[4:5], v4
; %bb.3:
	s_or_b32 exec_lo, exec_lo, s0
	s_wait_dscnt 0x0
	v_cmp_ge_i64_e64 s0, v[2:3], v[4:5]
	s_branch .LBB12_8
.LBB12_4:
                                        ; implicit-def: $sgpr0
	s_cbranch_execz .LBB12_8
; %bb.5:
	s_mov_b32 s0, -1
	s_mov_b32 s1, exec_lo
	s_wait_loadcnt 0x0
	ds_store_b64 v1, v[2:3]
	s_wait_dscnt 0x0
	s_barrier_signal -1
	s_barrier_wait -1
	v_cmpx_ne_u32_e32 0, v0
	s_cbranch_execz .LBB12_7
; %bb.6:
	v_add_nc_u32_e32 v1, -8, v1
	ds_load_b64 v[4:5], v1
	s_wait_dscnt 0x0
	v_cmp_ge_i64_e32 vcc_lo, v[2:3], v[4:5]
	s_or_not1_b32 s0, vcc_lo, exec_lo
.LBB12_7:
	s_or_b32 exec_lo, exec_lo, s1
.LBB12_8:
	s_mov_b32 s1, 0
	s_wait_loadcnt 0x0
	s_delay_alu instid0(VALU_DEP_1)
	v_cndmask_b32_e64 v2, 0, 1, s0
	v_mov_b32_e32 v3, s1
	s_add_nc_u64 s[0:1], s[2:3], s[4:5]
	global_store_b64 v0, v[2:3], s[0:1] scale_offset
	s_endpgm
	.section	.rodata,"a",@progbits
	.p2align	6, 0x0
	.amdhsa_kernel _Z17flag_heads_kernelIxcN10test_utils13greater_equalELj510ELj1EEvPT_Px
		.amdhsa_group_segment_fixed_size 8160
		.amdhsa_private_segment_fixed_size 0
		.amdhsa_kernarg_size 16
		.amdhsa_user_sgpr_count 2
		.amdhsa_user_sgpr_dispatch_ptr 0
		.amdhsa_user_sgpr_queue_ptr 0
		.amdhsa_user_sgpr_kernarg_segment_ptr 1
		.amdhsa_user_sgpr_dispatch_id 0
		.amdhsa_user_sgpr_kernarg_preload_length 0
		.amdhsa_user_sgpr_kernarg_preload_offset 0
		.amdhsa_user_sgpr_private_segment_size 0
		.amdhsa_wavefront_size32 1
		.amdhsa_uses_dynamic_stack 0
		.amdhsa_enable_private_segment 0
		.amdhsa_system_sgpr_workgroup_id_x 1
		.amdhsa_system_sgpr_workgroup_id_y 0
		.amdhsa_system_sgpr_workgroup_id_z 0
		.amdhsa_system_sgpr_workgroup_info 0
		.amdhsa_system_vgpr_workitem_id 0
		.amdhsa_next_free_vgpr 6
		.amdhsa_next_free_sgpr 11
		.amdhsa_named_barrier_count 0
		.amdhsa_reserve_vcc 1
		.amdhsa_float_round_mode_32 0
		.amdhsa_float_round_mode_16_64 0
		.amdhsa_float_denorm_mode_32 3
		.amdhsa_float_denorm_mode_16_64 3
		.amdhsa_fp16_overflow 0
		.amdhsa_memory_ordered 1
		.amdhsa_forward_progress 1
		.amdhsa_inst_pref_size 3
		.amdhsa_round_robin_scheduling 0
		.amdhsa_exception_fp_ieee_invalid_op 0
		.amdhsa_exception_fp_denorm_src 0
		.amdhsa_exception_fp_ieee_div_zero 0
		.amdhsa_exception_fp_ieee_overflow 0
		.amdhsa_exception_fp_ieee_underflow 0
		.amdhsa_exception_fp_ieee_inexact 0
		.amdhsa_exception_int_div_zero 0
	.end_amdhsa_kernel
	.section	.text._Z17flag_heads_kernelIxcN10test_utils13greater_equalELj510ELj1EEvPT_Px,"axG",@progbits,_Z17flag_heads_kernelIxcN10test_utils13greater_equalELj510ELj1EEvPT_Px,comdat
.Lfunc_end12:
	.size	_Z17flag_heads_kernelIxcN10test_utils13greater_equalELj510ELj1EEvPT_Px, .Lfunc_end12-_Z17flag_heads_kernelIxcN10test_utils13greater_equalELj510ELj1EEvPT_Px
                                        ; -- End function
	.set _Z17flag_heads_kernelIxcN10test_utils13greater_equalELj510ELj1EEvPT_Px.num_vgpr, 6
	.set _Z17flag_heads_kernelIxcN10test_utils13greater_equalELj510ELj1EEvPT_Px.num_agpr, 0
	.set _Z17flag_heads_kernelIxcN10test_utils13greater_equalELj510ELj1EEvPT_Px.numbered_sgpr, 11
	.set _Z17flag_heads_kernelIxcN10test_utils13greater_equalELj510ELj1EEvPT_Px.num_named_barrier, 0
	.set _Z17flag_heads_kernelIxcN10test_utils13greater_equalELj510ELj1EEvPT_Px.private_seg_size, 0
	.set _Z17flag_heads_kernelIxcN10test_utils13greater_equalELj510ELj1EEvPT_Px.uses_vcc, 1
	.set _Z17flag_heads_kernelIxcN10test_utils13greater_equalELj510ELj1EEvPT_Px.uses_flat_scratch, 0
	.set _Z17flag_heads_kernelIxcN10test_utils13greater_equalELj510ELj1EEvPT_Px.has_dyn_sized_stack, 0
	.set _Z17flag_heads_kernelIxcN10test_utils13greater_equalELj510ELj1EEvPT_Px.has_recursion, 0
	.set _Z17flag_heads_kernelIxcN10test_utils13greater_equalELj510ELj1EEvPT_Px.has_indirect_call, 0
	.section	.AMDGPU.csdata,"",@progbits
; Kernel info:
; codeLenInByte = 296
; TotalNumSgprs: 13
; NumVgprs: 6
; ScratchSize: 0
; MemoryBound: 0
; FloatMode: 240
; IeeeMode: 1
; LDSByteSize: 8160 bytes/workgroup (compile time only)
; SGPRBlocks: 0
; VGPRBlocks: 0
; NumSGPRsForWavesPerEU: 13
; NumVGPRsForWavesPerEU: 6
; NamedBarCnt: 0
; Occupancy: 16
; WaveLimiterHint : 0
; COMPUTE_PGM_RSRC2:SCRATCH_EN: 0
; COMPUTE_PGM_RSRC2:USER_SGPR: 2
; COMPUTE_PGM_RSRC2:TRAP_HANDLER: 0
; COMPUTE_PGM_RSRC2:TGID_X_EN: 1
; COMPUTE_PGM_RSRC2:TGID_Y_EN: 0
; COMPUTE_PGM_RSRC2:TGID_Z_EN: 0
; COMPUTE_PGM_RSRC2:TIDIG_COMP_CNT: 0
	.section	.text._Z17flag_heads_kernelI12hip_bfloat16iN10test_utils7greaterELj37ELj1EEvPT_Px,"axG",@progbits,_Z17flag_heads_kernelI12hip_bfloat16iN10test_utils7greaterELj37ELj1EEvPT_Px,comdat
	.protected	_Z17flag_heads_kernelI12hip_bfloat16iN10test_utils7greaterELj37ELj1EEvPT_Px ; -- Begin function _Z17flag_heads_kernelI12hip_bfloat16iN10test_utils7greaterELj37ELj1EEvPT_Px
	.globl	_Z17flag_heads_kernelI12hip_bfloat16iN10test_utils7greaterELj37ELj1EEvPT_Px
	.p2align	8
	.type	_Z17flag_heads_kernelI12hip_bfloat16iN10test_utils7greaterELj37ELj1EEvPT_Px,@function
_Z17flag_heads_kernelI12hip_bfloat16iN10test_utils7greaterELj37ELj1EEvPT_Px: ; @_Z17flag_heads_kernelI12hip_bfloat16iN10test_utils7greaterELj37ELj1EEvPT_Px
; %bb.0:
	s_load_b128 s[0:3], s[0:1], 0x0
	s_bfe_u32 s4, ttmp6, 0x4000c
	s_and_b32 s5, ttmp6, 15
	s_add_co_i32 s4, s4, 1
	s_getreg_b32 s6, hwreg(HW_REG_IB_STS2, 6, 4)
	s_mul_i32 s4, ttmp9, s4
	v_lshlrev_b32_e32 v2, 1, v0
	s_add_co_i32 s5, s5, s4
	s_cmp_eq_u32 s6, 0
	v_cmp_ne_u32_e32 vcc_lo, 0, v0
	s_cselect_b32 s8, ttmp9, s5
	s_mov_b32 s5, 0
	s_mul_i32 s4, s8, 37
	s_delay_alu instid0(SALU_CYCLE_1)
	s_lshl_b64 s[6:7], s[4:5], 1
	s_bitcmp0_b32 s8, 0
	s_wait_kmcnt 0x0
	s_add_nc_u64 s[6:7], s[0:1], s[6:7]
	global_load_u16 v1, v0, s[6:7] scale_offset
	s_cbranch_scc1 .LBB13_4
; %bb.1:
	s_wait_xcnt 0x0
	s_add_co_i32 s6, s4, -1
	s_wait_loadcnt 0x0
	ds_store_b16 v2, v1
	v_mov_b32_e32 v3, s6
	global_load_u16 v3, v3, s[0:1] scale_offset
	s_wait_loadcnt_dscnt 0x0
	s_barrier_signal -1
	s_barrier_wait -1
	s_and_saveexec_b32 s0, vcc_lo
; %bb.2:
	v_add_nc_u32_e32 v3, -2, v2
	ds_load_u16 v3, v3
; %bb.3:
	s_or_b32 exec_lo, exec_lo, s0
	s_wait_dscnt 0x0
	v_dual_lshlrev_b32 v4, 16, v1 :: v_dual_lshlrev_b32 v3, 16, v3
	s_delay_alu instid0(VALU_DEP_1)
	v_cmp_lt_f32_e64 s0, v3, v4
	s_branch .LBB13_8
.LBB13_4:
                                        ; implicit-def: $sgpr0
	s_cbranch_execz .LBB13_8
; %bb.5:
	s_mov_b32 s0, -1
	s_mov_b32 s1, exec_lo
	s_wait_loadcnt 0x0
	ds_store_b16 v2, v1
	s_wait_dscnt 0x0
	s_barrier_signal -1
	s_barrier_wait -1
	v_cmpx_ne_u32_e32 0, v0
	s_cbranch_execz .LBB13_7
; %bb.6:
	v_dual_add_nc_u32 v2, -2, v2 :: v_dual_lshlrev_b32 v1, 16, v1
	ds_load_u16 v2, v2
	s_wait_dscnt 0x0
	v_lshlrev_b32_e32 v2, 16, v2
	s_delay_alu instid0(VALU_DEP_1)
	v_cmp_lt_f32_e32 vcc_lo, v2, v1
	s_or_not1_b32 s0, vcc_lo, exec_lo
.LBB13_7:
	s_or_b32 exec_lo, exec_lo, s1
.LBB13_8:
	s_mov_b32 s1, 0
	s_delay_alu instid0(VALU_DEP_1) | instskip(SKIP_2) | instid1(SALU_CYCLE_1)
	v_cndmask_b32_e64 v2, 0, 1, s0
	v_mov_b32_e32 v3, s1
	s_lshl_b64 s[0:1], s[4:5], 3
	s_add_nc_u64 s[0:1], s[2:3], s[0:1]
	global_store_b64 v0, v[2:3], s[0:1] scale_offset
	s_endpgm
	.section	.rodata,"a",@progbits
	.p2align	6, 0x0
	.amdhsa_kernel _Z17flag_heads_kernelI12hip_bfloat16iN10test_utils7greaterELj37ELj1EEvPT_Px
		.amdhsa_group_segment_fixed_size 148
		.amdhsa_private_segment_fixed_size 0
		.amdhsa_kernarg_size 16
		.amdhsa_user_sgpr_count 2
		.amdhsa_user_sgpr_dispatch_ptr 0
		.amdhsa_user_sgpr_queue_ptr 0
		.amdhsa_user_sgpr_kernarg_segment_ptr 1
		.amdhsa_user_sgpr_dispatch_id 0
		.amdhsa_user_sgpr_kernarg_preload_length 0
		.amdhsa_user_sgpr_kernarg_preload_offset 0
		.amdhsa_user_sgpr_private_segment_size 0
		.amdhsa_wavefront_size32 1
		.amdhsa_uses_dynamic_stack 0
		.amdhsa_enable_private_segment 0
		.amdhsa_system_sgpr_workgroup_id_x 1
		.amdhsa_system_sgpr_workgroup_id_y 0
		.amdhsa_system_sgpr_workgroup_id_z 0
		.amdhsa_system_sgpr_workgroup_info 0
		.amdhsa_system_vgpr_workitem_id 0
		.amdhsa_next_free_vgpr 5
		.amdhsa_next_free_sgpr 9
		.amdhsa_named_barrier_count 0
		.amdhsa_reserve_vcc 1
		.amdhsa_float_round_mode_32 0
		.amdhsa_float_round_mode_16_64 0
		.amdhsa_float_denorm_mode_32 3
		.amdhsa_float_denorm_mode_16_64 3
		.amdhsa_fp16_overflow 0
		.amdhsa_memory_ordered 1
		.amdhsa_forward_progress 1
		.amdhsa_inst_pref_size 3
		.amdhsa_round_robin_scheduling 0
		.amdhsa_exception_fp_ieee_invalid_op 0
		.amdhsa_exception_fp_denorm_src 0
		.amdhsa_exception_fp_ieee_div_zero 0
		.amdhsa_exception_fp_ieee_overflow 0
		.amdhsa_exception_fp_ieee_underflow 0
		.amdhsa_exception_fp_ieee_inexact 0
		.amdhsa_exception_int_div_zero 0
	.end_amdhsa_kernel
	.section	.text._Z17flag_heads_kernelI12hip_bfloat16iN10test_utils7greaterELj37ELj1EEvPT_Px,"axG",@progbits,_Z17flag_heads_kernelI12hip_bfloat16iN10test_utils7greaterELj37ELj1EEvPT_Px,comdat
.Lfunc_end13:
	.size	_Z17flag_heads_kernelI12hip_bfloat16iN10test_utils7greaterELj37ELj1EEvPT_Px, .Lfunc_end13-_Z17flag_heads_kernelI12hip_bfloat16iN10test_utils7greaterELj37ELj1EEvPT_Px
                                        ; -- End function
	.set _Z17flag_heads_kernelI12hip_bfloat16iN10test_utils7greaterELj37ELj1EEvPT_Px.num_vgpr, 5
	.set _Z17flag_heads_kernelI12hip_bfloat16iN10test_utils7greaterELj37ELj1EEvPT_Px.num_agpr, 0
	.set _Z17flag_heads_kernelI12hip_bfloat16iN10test_utils7greaterELj37ELj1EEvPT_Px.numbered_sgpr, 9
	.set _Z17flag_heads_kernelI12hip_bfloat16iN10test_utils7greaterELj37ELj1EEvPT_Px.num_named_barrier, 0
	.set _Z17flag_heads_kernelI12hip_bfloat16iN10test_utils7greaterELj37ELj1EEvPT_Px.private_seg_size, 0
	.set _Z17flag_heads_kernelI12hip_bfloat16iN10test_utils7greaterELj37ELj1EEvPT_Px.uses_vcc, 1
	.set _Z17flag_heads_kernelI12hip_bfloat16iN10test_utils7greaterELj37ELj1EEvPT_Px.uses_flat_scratch, 0
	.set _Z17flag_heads_kernelI12hip_bfloat16iN10test_utils7greaterELj37ELj1EEvPT_Px.has_dyn_sized_stack, 0
	.set _Z17flag_heads_kernelI12hip_bfloat16iN10test_utils7greaterELj37ELj1EEvPT_Px.has_recursion, 0
	.set _Z17flag_heads_kernelI12hip_bfloat16iN10test_utils7greaterELj37ELj1EEvPT_Px.has_indirect_call, 0
	.section	.AMDGPU.csdata,"",@progbits
; Kernel info:
; codeLenInByte = 328
; TotalNumSgprs: 11
; NumVgprs: 5
; ScratchSize: 0
; MemoryBound: 0
; FloatMode: 240
; IeeeMode: 1
; LDSByteSize: 148 bytes/workgroup (compile time only)
; SGPRBlocks: 0
; VGPRBlocks: 0
; NumSGPRsForWavesPerEU: 11
; NumVGPRsForWavesPerEU: 5
; NamedBarCnt: 0
; Occupancy: 16
; WaveLimiterHint : 0
; COMPUTE_PGM_RSRC2:SCRATCH_EN: 0
; COMPUTE_PGM_RSRC2:USER_SGPR: 2
; COMPUTE_PGM_RSRC2:TRAP_HANDLER: 0
; COMPUTE_PGM_RSRC2:TGID_X_EN: 1
; COMPUTE_PGM_RSRC2:TGID_Y_EN: 0
; COMPUTE_PGM_RSRC2:TGID_Z_EN: 0
; COMPUTE_PGM_RSRC2:TIDIG_COMP_CNT: 0
	.section	.text._Z17flag_heads_kernelI6__halfiN10test_utils7greaterELj37ELj1EEvPT_Px,"axG",@progbits,_Z17flag_heads_kernelI6__halfiN10test_utils7greaterELj37ELj1EEvPT_Px,comdat
	.protected	_Z17flag_heads_kernelI6__halfiN10test_utils7greaterELj37ELj1EEvPT_Px ; -- Begin function _Z17flag_heads_kernelI6__halfiN10test_utils7greaterELj37ELj1EEvPT_Px
	.globl	_Z17flag_heads_kernelI6__halfiN10test_utils7greaterELj37ELj1EEvPT_Px
	.p2align	8
	.type	_Z17flag_heads_kernelI6__halfiN10test_utils7greaterELj37ELj1EEvPT_Px,@function
_Z17flag_heads_kernelI6__halfiN10test_utils7greaterELj37ELj1EEvPT_Px: ; @_Z17flag_heads_kernelI6__halfiN10test_utils7greaterELj37ELj1EEvPT_Px
; %bb.0:
	s_load_b128 s[0:3], s[0:1], 0x0
	s_bfe_u32 s4, ttmp6, 0x4000c
	s_and_b32 s5, ttmp6, 15
	s_add_co_i32 s4, s4, 1
	s_getreg_b32 s6, hwreg(HW_REG_IB_STS2, 6, 4)
	s_mul_i32 s4, ttmp9, s4
	v_lshlrev_b32_e32 v2, 1, v0
	s_add_co_i32 s5, s5, s4
	s_cmp_eq_u32 s6, 0
	v_cmp_ne_u32_e32 vcc_lo, 0, v0
	s_cselect_b32 s8, ttmp9, s5
	s_mov_b32 s5, 0
	s_mul_i32 s4, s8, 37
	s_delay_alu instid0(SALU_CYCLE_1)
	s_lshl_b64 s[6:7], s[4:5], 1
	s_bitcmp0_b32 s8, 0
	s_wait_kmcnt 0x0
	s_add_nc_u64 s[6:7], s[0:1], s[6:7]
	global_load_u16 v1, v0, s[6:7] scale_offset
	s_cbranch_scc1 .LBB14_4
; %bb.1:
	s_wait_xcnt 0x0
	s_add_co_i32 s6, s4, -1
	s_wait_loadcnt 0x0
	ds_store_b16 v2, v1
	v_mov_b32_e32 v3, s6
	global_load_u16 v3, v3, s[0:1] scale_offset
	s_wait_loadcnt_dscnt 0x0
	s_barrier_signal -1
	s_barrier_wait -1
	s_and_saveexec_b32 s0, vcc_lo
; %bb.2:
	v_add_nc_u32_e32 v3, -2, v2
	ds_load_u16 v3, v3
; %bb.3:
	s_or_b32 exec_lo, exec_lo, s0
	s_wait_dscnt 0x0
	v_cmp_lt_f16_e64 s0, v3, v1
	s_branch .LBB14_8
.LBB14_4:
                                        ; implicit-def: $sgpr0
	s_cbranch_execz .LBB14_8
; %bb.5:
	s_mov_b32 s0, -1
	s_mov_b32 s1, exec_lo
	s_wait_loadcnt 0x0
	ds_store_b16 v2, v1
	s_wait_dscnt 0x0
	s_barrier_signal -1
	s_barrier_wait -1
	v_cmpx_ne_u32_e32 0, v0
	s_cbranch_execz .LBB14_7
; %bb.6:
	v_add_nc_u32_e32 v2, -2, v2
	ds_load_u16 v2, v2
	s_wait_dscnt 0x0
	v_cmp_lt_f16_e32 vcc_lo, v2, v1
	s_or_not1_b32 s0, vcc_lo, exec_lo
.LBB14_7:
	s_or_b32 exec_lo, exec_lo, s1
.LBB14_8:
	s_mov_b32 s1, 0
	s_delay_alu instid0(VALU_DEP_1) | instskip(SKIP_2) | instid1(SALU_CYCLE_1)
	v_cndmask_b32_e64 v2, 0, 1, s0
	v_mov_b32_e32 v3, s1
	s_lshl_b64 s[0:1], s[4:5], 3
	s_add_nc_u64 s[0:1], s[2:3], s[0:1]
	global_store_b64 v0, v[2:3], s[0:1] scale_offset
	s_endpgm
	.section	.rodata,"a",@progbits
	.p2align	6, 0x0
	.amdhsa_kernel _Z17flag_heads_kernelI6__halfiN10test_utils7greaterELj37ELj1EEvPT_Px
		.amdhsa_group_segment_fixed_size 148
		.amdhsa_private_segment_fixed_size 0
		.amdhsa_kernarg_size 16
		.amdhsa_user_sgpr_count 2
		.amdhsa_user_sgpr_dispatch_ptr 0
		.amdhsa_user_sgpr_queue_ptr 0
		.amdhsa_user_sgpr_kernarg_segment_ptr 1
		.amdhsa_user_sgpr_dispatch_id 0
		.amdhsa_user_sgpr_kernarg_preload_length 0
		.amdhsa_user_sgpr_kernarg_preload_offset 0
		.amdhsa_user_sgpr_private_segment_size 0
		.amdhsa_wavefront_size32 1
		.amdhsa_uses_dynamic_stack 0
		.amdhsa_enable_private_segment 0
		.amdhsa_system_sgpr_workgroup_id_x 1
		.amdhsa_system_sgpr_workgroup_id_y 0
		.amdhsa_system_sgpr_workgroup_id_z 0
		.amdhsa_system_sgpr_workgroup_info 0
		.amdhsa_system_vgpr_workitem_id 0
		.amdhsa_next_free_vgpr 4
		.amdhsa_next_free_sgpr 9
		.amdhsa_named_barrier_count 0
		.amdhsa_reserve_vcc 1
		.amdhsa_float_round_mode_32 0
		.amdhsa_float_round_mode_16_64 0
		.amdhsa_float_denorm_mode_32 3
		.amdhsa_float_denorm_mode_16_64 3
		.amdhsa_fp16_overflow 0
		.amdhsa_memory_ordered 1
		.amdhsa_forward_progress 1
		.amdhsa_inst_pref_size 3
		.amdhsa_round_robin_scheduling 0
		.amdhsa_exception_fp_ieee_invalid_op 0
		.amdhsa_exception_fp_denorm_src 0
		.amdhsa_exception_fp_ieee_div_zero 0
		.amdhsa_exception_fp_ieee_overflow 0
		.amdhsa_exception_fp_ieee_underflow 0
		.amdhsa_exception_fp_ieee_inexact 0
		.amdhsa_exception_int_div_zero 0
	.end_amdhsa_kernel
	.section	.text._Z17flag_heads_kernelI6__halfiN10test_utils7greaterELj37ELj1EEvPT_Px,"axG",@progbits,_Z17flag_heads_kernelI6__halfiN10test_utils7greaterELj37ELj1EEvPT_Px,comdat
.Lfunc_end14:
	.size	_Z17flag_heads_kernelI6__halfiN10test_utils7greaterELj37ELj1EEvPT_Px, .Lfunc_end14-_Z17flag_heads_kernelI6__halfiN10test_utils7greaterELj37ELj1EEvPT_Px
                                        ; -- End function
	.set _Z17flag_heads_kernelI6__halfiN10test_utils7greaterELj37ELj1EEvPT_Px.num_vgpr, 4
	.set _Z17flag_heads_kernelI6__halfiN10test_utils7greaterELj37ELj1EEvPT_Px.num_agpr, 0
	.set _Z17flag_heads_kernelI6__halfiN10test_utils7greaterELj37ELj1EEvPT_Px.numbered_sgpr, 9
	.set _Z17flag_heads_kernelI6__halfiN10test_utils7greaterELj37ELj1EEvPT_Px.num_named_barrier, 0
	.set _Z17flag_heads_kernelI6__halfiN10test_utils7greaterELj37ELj1EEvPT_Px.private_seg_size, 0
	.set _Z17flag_heads_kernelI6__halfiN10test_utils7greaterELj37ELj1EEvPT_Px.uses_vcc, 1
	.set _Z17flag_heads_kernelI6__halfiN10test_utils7greaterELj37ELj1EEvPT_Px.uses_flat_scratch, 0
	.set _Z17flag_heads_kernelI6__halfiN10test_utils7greaterELj37ELj1EEvPT_Px.has_dyn_sized_stack, 0
	.set _Z17flag_heads_kernelI6__halfiN10test_utils7greaterELj37ELj1EEvPT_Px.has_recursion, 0
	.set _Z17flag_heads_kernelI6__halfiN10test_utils7greaterELj37ELj1EEvPT_Px.has_indirect_call, 0
	.section	.AMDGPU.csdata,"",@progbits
; Kernel info:
; codeLenInByte = 296
; TotalNumSgprs: 11
; NumVgprs: 4
; ScratchSize: 0
; MemoryBound: 0
; FloatMode: 240
; IeeeMode: 1
; LDSByteSize: 148 bytes/workgroup (compile time only)
; SGPRBlocks: 0
; VGPRBlocks: 0
; NumSGPRsForWavesPerEU: 11
; NumVGPRsForWavesPerEU: 4
; NamedBarCnt: 0
; Occupancy: 16
; WaveLimiterHint : 0
; COMPUTE_PGM_RSRC2:SCRATCH_EN: 0
; COMPUTE_PGM_RSRC2:USER_SGPR: 2
; COMPUTE_PGM_RSRC2:TRAP_HANDLER: 0
; COMPUTE_PGM_RSRC2:TGID_X_EN: 1
; COMPUTE_PGM_RSRC2:TGID_Y_EN: 0
; COMPUTE_PGM_RSRC2:TGID_Z_EN: 0
; COMPUTE_PGM_RSRC2:TIDIG_COMP_CNT: 0
	.section	.text._Z17flag_heads_kernelIfi15custom_flag_op1IfELj37ELj1EEvPT_Px,"axG",@progbits,_Z17flag_heads_kernelIfi15custom_flag_op1IfELj37ELj1EEvPT_Px,comdat
	.protected	_Z17flag_heads_kernelIfi15custom_flag_op1IfELj37ELj1EEvPT_Px ; -- Begin function _Z17flag_heads_kernelIfi15custom_flag_op1IfELj37ELj1EEvPT_Px
	.globl	_Z17flag_heads_kernelIfi15custom_flag_op1IfELj37ELj1EEvPT_Px
	.p2align	8
	.type	_Z17flag_heads_kernelIfi15custom_flag_op1IfELj37ELj1EEvPT_Px,@function
_Z17flag_heads_kernelIfi15custom_flag_op1IfELj37ELj1EEvPT_Px: ; @_Z17flag_heads_kernelIfi15custom_flag_op1IfELj37ELj1EEvPT_Px
; %bb.0:
	s_load_b128 s[0:3], s[0:1], 0x0
	s_bfe_u32 s4, ttmp6, 0x4000c
	s_and_b32 s5, ttmp6, 15
	s_add_co_i32 s4, s4, 1
	s_getreg_b32 s6, hwreg(HW_REG_IB_STS2, 6, 4)
	s_mul_i32 s4, ttmp9, s4
	v_lshlrev_b32_e32 v2, 2, v0
	s_add_co_i32 s5, s5, s4
	s_cmp_eq_u32 s6, 0
	v_cmp_ne_u32_e32 vcc_lo, 0, v0
	s_cselect_b32 s8, ttmp9, s5
	s_mov_b32 s5, 0
	s_mul_i32 s4, s8, 37
	s_delay_alu instid0(SALU_CYCLE_1)
	s_lshl_b64 s[6:7], s[4:5], 2
	s_bitcmp0_b32 s8, 0
	s_wait_kmcnt 0x0
	s_add_nc_u64 s[6:7], s[0:1], s[6:7]
	global_load_b32 v1, v0, s[6:7] scale_offset
	s_cbranch_scc1 .LBB15_6
; %bb.1:
	s_wait_xcnt 0x0
	s_add_co_i32 s6, s4, -1
	s_wait_loadcnt 0x0
	ds_store_b32 v2, v1
	s_load_b32 s1, s[0:1], s6 offset:0x0 scale_offset
	s_wait_xcnt 0x0
	s_mov_b32 s0, -1
	s_wait_dscnt 0x0
	s_barrier_signal -1
	s_barrier_wait -1
	s_wait_kmcnt 0x0
	v_mov_b32_e32 v3, s1
	s_and_saveexec_b32 s1, vcc_lo
; %bb.2:
	v_add_nc_u32_e32 v3, -4, v2
	ds_load_b32 v3, v3
; %bb.3:
	s_or_b32 exec_lo, exec_lo, s1
	s_delay_alu instid0(SALU_CYCLE_1)
	s_mov_b32 s1, exec_lo
	s_wait_dscnt 0x0
	v_cmpx_neq_f32_e32 v1, v3
; %bb.4:
	v_mul_lo_u16 v3, 0xcccd, v0
	s_delay_alu instid0(VALU_DEP_1) | instskip(SKIP_1) | instid1(VALU_DEP_1)
	v_lshlrev_b16 v4, 15, v3
	v_lshrrev_b16 v3, 1, v3
	v_or_b32_e32 v3, v3, v4
	s_delay_alu instid0(VALU_DEP_1)
	v_cmp_gt_u16_e32 vcc_lo, 0x199a, v3
	s_or_not1_b32 s0, vcc_lo, exec_lo
; %bb.5:
	s_or_b32 exec_lo, exec_lo, s1
	s_branch .LBB15_12
.LBB15_6:
                                        ; implicit-def: $sgpr0
	s_cbranch_execz .LBB15_12
; %bb.7:
	s_mov_b32 s0, -1
	s_mov_b32 s1, exec_lo
	s_wait_loadcnt 0x0
	ds_store_b32 v2, v1
	s_wait_dscnt 0x0
	s_barrier_signal -1
	s_barrier_wait -1
	v_cmpx_ne_u32_e32 0, v0
	s_cbranch_execz .LBB15_11
; %bb.8:
	v_add_nc_u32_e32 v2, -4, v2
	s_mov_b32 s6, -1
	s_mov_b32 s0, exec_lo
	ds_load_b32 v2, v2
	s_wait_dscnt 0x0
	v_cmpx_neq_f32_e32 v1, v2
; %bb.9:
	v_mul_lo_u16 v1, 0xcccd, v0
	s_delay_alu instid0(VALU_DEP_1) | instskip(SKIP_1) | instid1(VALU_DEP_1)
	v_lshlrev_b16 v2, 15, v1
	v_lshrrev_b16 v1, 1, v1
	v_or_b32_e32 v1, v1, v2
	s_delay_alu instid0(VALU_DEP_1)
	v_cmp_gt_u16_e32 vcc_lo, 0x199a, v1
	s_or_not1_b32 s6, vcc_lo, exec_lo
; %bb.10:
	s_or_b32 exec_lo, exec_lo, s0
	s_delay_alu instid0(SALU_CYCLE_1)
	s_or_not1_b32 s0, s6, exec_lo
.LBB15_11:
	s_or_b32 exec_lo, exec_lo, s1
.LBB15_12:
	s_mov_b32 s1, 0
	v_cndmask_b32_e64 v2, 0, 1, s0
	v_mov_b32_e32 v3, s1
	s_lshl_b64 s[0:1], s[4:5], 3
	s_delay_alu instid0(SALU_CYCLE_1)
	s_add_nc_u64 s[0:1], s[2:3], s[0:1]
	global_store_b64 v0, v[2:3], s[0:1] scale_offset
	s_endpgm
	.section	.rodata,"a",@progbits
	.p2align	6, 0x0
	.amdhsa_kernel _Z17flag_heads_kernelIfi15custom_flag_op1IfELj37ELj1EEvPT_Px
		.amdhsa_group_segment_fixed_size 296
		.amdhsa_private_segment_fixed_size 0
		.amdhsa_kernarg_size 16
		.amdhsa_user_sgpr_count 2
		.amdhsa_user_sgpr_dispatch_ptr 0
		.amdhsa_user_sgpr_queue_ptr 0
		.amdhsa_user_sgpr_kernarg_segment_ptr 1
		.amdhsa_user_sgpr_dispatch_id 0
		.amdhsa_user_sgpr_kernarg_preload_length 0
		.amdhsa_user_sgpr_kernarg_preload_offset 0
		.amdhsa_user_sgpr_private_segment_size 0
		.amdhsa_wavefront_size32 1
		.amdhsa_uses_dynamic_stack 0
		.amdhsa_enable_private_segment 0
		.amdhsa_system_sgpr_workgroup_id_x 1
		.amdhsa_system_sgpr_workgroup_id_y 0
		.amdhsa_system_sgpr_workgroup_id_z 0
		.amdhsa_system_sgpr_workgroup_info 0
		.amdhsa_system_vgpr_workitem_id 0
		.amdhsa_next_free_vgpr 5
		.amdhsa_next_free_sgpr 9
		.amdhsa_named_barrier_count 0
		.amdhsa_reserve_vcc 1
		.amdhsa_float_round_mode_32 0
		.amdhsa_float_round_mode_16_64 0
		.amdhsa_float_denorm_mode_32 3
		.amdhsa_float_denorm_mode_16_64 3
		.amdhsa_fp16_overflow 0
		.amdhsa_memory_ordered 1
		.amdhsa_forward_progress 1
		.amdhsa_inst_pref_size 4
		.amdhsa_round_robin_scheduling 0
		.amdhsa_exception_fp_ieee_invalid_op 0
		.amdhsa_exception_fp_denorm_src 0
		.amdhsa_exception_fp_ieee_div_zero 0
		.amdhsa_exception_fp_ieee_overflow 0
		.amdhsa_exception_fp_ieee_underflow 0
		.amdhsa_exception_fp_ieee_inexact 0
		.amdhsa_exception_int_div_zero 0
	.end_amdhsa_kernel
	.section	.text._Z17flag_heads_kernelIfi15custom_flag_op1IfELj37ELj1EEvPT_Px,"axG",@progbits,_Z17flag_heads_kernelIfi15custom_flag_op1IfELj37ELj1EEvPT_Px,comdat
.Lfunc_end15:
	.size	_Z17flag_heads_kernelIfi15custom_flag_op1IfELj37ELj1EEvPT_Px, .Lfunc_end15-_Z17flag_heads_kernelIfi15custom_flag_op1IfELj37ELj1EEvPT_Px
                                        ; -- End function
	.set _Z17flag_heads_kernelIfi15custom_flag_op1IfELj37ELj1EEvPT_Px.num_vgpr, 5
	.set _Z17flag_heads_kernelIfi15custom_flag_op1IfELj37ELj1EEvPT_Px.num_agpr, 0
	.set _Z17flag_heads_kernelIfi15custom_flag_op1IfELj37ELj1EEvPT_Px.numbered_sgpr, 9
	.set _Z17flag_heads_kernelIfi15custom_flag_op1IfELj37ELj1EEvPT_Px.num_named_barrier, 0
	.set _Z17flag_heads_kernelIfi15custom_flag_op1IfELj37ELj1EEvPT_Px.private_seg_size, 0
	.set _Z17flag_heads_kernelIfi15custom_flag_op1IfELj37ELj1EEvPT_Px.uses_vcc, 1
	.set _Z17flag_heads_kernelIfi15custom_flag_op1IfELj37ELj1EEvPT_Px.uses_flat_scratch, 0
	.set _Z17flag_heads_kernelIfi15custom_flag_op1IfELj37ELj1EEvPT_Px.has_dyn_sized_stack, 0
	.set _Z17flag_heads_kernelIfi15custom_flag_op1IfELj37ELj1EEvPT_Px.has_recursion, 0
	.set _Z17flag_heads_kernelIfi15custom_flag_op1IfELj37ELj1EEvPT_Px.has_indirect_call, 0
	.section	.AMDGPU.csdata,"",@progbits
; Kernel info:
; codeLenInByte = 432
; TotalNumSgprs: 11
; NumVgprs: 5
; ScratchSize: 0
; MemoryBound: 0
; FloatMode: 240
; IeeeMode: 1
; LDSByteSize: 296 bytes/workgroup (compile time only)
; SGPRBlocks: 0
; VGPRBlocks: 0
; NumSGPRsForWavesPerEU: 11
; NumVGPRsForWavesPerEU: 5
; NamedBarCnt: 0
; Occupancy: 16
; WaveLimiterHint : 0
; COMPUTE_PGM_RSRC2:SCRATCH_EN: 0
; COMPUTE_PGM_RSRC2:USER_SGPR: 2
; COMPUTE_PGM_RSRC2:TRAP_HANDLER: 0
; COMPUTE_PGM_RSRC2:TGID_X_EN: 1
; COMPUTE_PGM_RSRC2:TGID_Y_EN: 0
; COMPUTE_PGM_RSRC2:TGID_Z_EN: 0
; COMPUTE_PGM_RSRC2:TIDIG_COMP_CNT: 0
	.section	.text._Z17flag_heads_kernelIdjN10test_utils7greaterELj65ELj1EEvPT_Px,"axG",@progbits,_Z17flag_heads_kernelIdjN10test_utils7greaterELj65ELj1EEvPT_Px,comdat
	.protected	_Z17flag_heads_kernelIdjN10test_utils7greaterELj65ELj1EEvPT_Px ; -- Begin function _Z17flag_heads_kernelIdjN10test_utils7greaterELj65ELj1EEvPT_Px
	.globl	_Z17flag_heads_kernelIdjN10test_utils7greaterELj65ELj1EEvPT_Px
	.p2align	8
	.type	_Z17flag_heads_kernelIdjN10test_utils7greaterELj65ELj1EEvPT_Px,@function
_Z17flag_heads_kernelIdjN10test_utils7greaterELj65ELj1EEvPT_Px: ; @_Z17flag_heads_kernelIdjN10test_utils7greaterELj65ELj1EEvPT_Px
; %bb.0:
	s_load_b128 s[0:3], s[0:1], 0x0
	s_bfe_u32 s4, ttmp6, 0x4000c
	s_and_b32 s5, ttmp6, 15
	s_add_co_i32 s4, s4, 1
	s_getreg_b32 s6, hwreg(HW_REG_IB_STS2, 6, 4)
	s_mul_i32 s4, ttmp9, s4
	s_mov_b32 s7, 0
	s_add_co_i32 s5, s5, s4
	s_cmp_eq_u32 s6, 0
	v_lshlrev_b32_e32 v1, 3, v0
	s_cselect_b32 s10, ttmp9, s5
	v_cmp_ne_u32_e32 vcc_lo, 0, v0
	s_mul_i32 s6, s10, 0x41
	s_delay_alu instid0(SALU_CYCLE_1)
	s_lshl_b64 s[4:5], s[6:7], 3
	s_bitcmp0_b32 s10, 0
	s_wait_kmcnt 0x0
	s_add_nc_u64 s[8:9], s[0:1], s[4:5]
	global_load_b64 v[2:3], v0, s[8:9] scale_offset
	s_cbranch_scc1 .LBB16_4
; %bb.1:
	s_add_co_i32 s6, s6, -1
	s_wait_loadcnt 0x0
	ds_store_b64 v1, v[2:3]
	s_load_b64 s[0:1], s[0:1], s6 offset:0x0 scale_offset
	s_wait_dscnt 0x0
	s_barrier_signal -1
	s_barrier_wait -1
	s_wait_kmcnt 0x0
	v_mov_b64_e32 v[4:5], s[0:1]
	s_and_saveexec_b32 s0, vcc_lo
; %bb.2:
	v_add_nc_u32_e32 v4, -8, v1
	ds_load_b64 v[4:5], v4
; %bb.3:
	s_or_b32 exec_lo, exec_lo, s0
	s_wait_dscnt 0x0
	v_cmp_gt_f64_e64 s0, v[2:3], v[4:5]
	s_branch .LBB16_8
.LBB16_4:
                                        ; implicit-def: $sgpr0
	s_cbranch_execz .LBB16_8
; %bb.5:
	s_mov_b32 s0, -1
	s_mov_b32 s1, exec_lo
	s_wait_loadcnt 0x0
	ds_store_b64 v1, v[2:3]
	s_wait_dscnt 0x0
	s_barrier_signal -1
	s_barrier_wait -1
	v_cmpx_ne_u32_e32 0, v0
	s_cbranch_execz .LBB16_7
; %bb.6:
	v_add_nc_u32_e32 v1, -8, v1
	ds_load_b64 v[4:5], v1
	s_wait_dscnt 0x0
	v_cmp_gt_f64_e32 vcc_lo, v[2:3], v[4:5]
	s_or_not1_b32 s0, vcc_lo, exec_lo
.LBB16_7:
	s_or_b32 exec_lo, exec_lo, s1
.LBB16_8:
	s_mov_b32 s1, 0
	s_wait_loadcnt 0x0
	s_delay_alu instid0(VALU_DEP_1)
	v_cndmask_b32_e64 v2, 0, 1, s0
	v_mov_b32_e32 v3, s1
	s_add_nc_u64 s[0:1], s[2:3], s[4:5]
	global_store_b64 v0, v[2:3], s[0:1] scale_offset
	s_endpgm
	.section	.rodata,"a",@progbits
	.p2align	6, 0x0
	.amdhsa_kernel _Z17flag_heads_kernelIdjN10test_utils7greaterELj65ELj1EEvPT_Px
		.amdhsa_group_segment_fixed_size 1040
		.amdhsa_private_segment_fixed_size 0
		.amdhsa_kernarg_size 16
		.amdhsa_user_sgpr_count 2
		.amdhsa_user_sgpr_dispatch_ptr 0
		.amdhsa_user_sgpr_queue_ptr 0
		.amdhsa_user_sgpr_kernarg_segment_ptr 1
		.amdhsa_user_sgpr_dispatch_id 0
		.amdhsa_user_sgpr_kernarg_preload_length 0
		.amdhsa_user_sgpr_kernarg_preload_offset 0
		.amdhsa_user_sgpr_private_segment_size 0
		.amdhsa_wavefront_size32 1
		.amdhsa_uses_dynamic_stack 0
		.amdhsa_enable_private_segment 0
		.amdhsa_system_sgpr_workgroup_id_x 1
		.amdhsa_system_sgpr_workgroup_id_y 0
		.amdhsa_system_sgpr_workgroup_id_z 0
		.amdhsa_system_sgpr_workgroup_info 0
		.amdhsa_system_vgpr_workitem_id 0
		.amdhsa_next_free_vgpr 6
		.amdhsa_next_free_sgpr 11
		.amdhsa_named_barrier_count 0
		.amdhsa_reserve_vcc 1
		.amdhsa_float_round_mode_32 0
		.amdhsa_float_round_mode_16_64 0
		.amdhsa_float_denorm_mode_32 3
		.amdhsa_float_denorm_mode_16_64 3
		.amdhsa_fp16_overflow 0
		.amdhsa_memory_ordered 1
		.amdhsa_forward_progress 1
		.amdhsa_inst_pref_size 3
		.amdhsa_round_robin_scheduling 0
		.amdhsa_exception_fp_ieee_invalid_op 0
		.amdhsa_exception_fp_denorm_src 0
		.amdhsa_exception_fp_ieee_div_zero 0
		.amdhsa_exception_fp_ieee_overflow 0
		.amdhsa_exception_fp_ieee_underflow 0
		.amdhsa_exception_fp_ieee_inexact 0
		.amdhsa_exception_int_div_zero 0
	.end_amdhsa_kernel
	.section	.text._Z17flag_heads_kernelIdjN10test_utils7greaterELj65ELj1EEvPT_Px,"axG",@progbits,_Z17flag_heads_kernelIdjN10test_utils7greaterELj65ELj1EEvPT_Px,comdat
.Lfunc_end16:
	.size	_Z17flag_heads_kernelIdjN10test_utils7greaterELj65ELj1EEvPT_Px, .Lfunc_end16-_Z17flag_heads_kernelIdjN10test_utils7greaterELj65ELj1EEvPT_Px
                                        ; -- End function
	.set _Z17flag_heads_kernelIdjN10test_utils7greaterELj65ELj1EEvPT_Px.num_vgpr, 6
	.set _Z17flag_heads_kernelIdjN10test_utils7greaterELj65ELj1EEvPT_Px.num_agpr, 0
	.set _Z17flag_heads_kernelIdjN10test_utils7greaterELj65ELj1EEvPT_Px.numbered_sgpr, 11
	.set _Z17flag_heads_kernelIdjN10test_utils7greaterELj65ELj1EEvPT_Px.num_named_barrier, 0
	.set _Z17flag_heads_kernelIdjN10test_utils7greaterELj65ELj1EEvPT_Px.private_seg_size, 0
	.set _Z17flag_heads_kernelIdjN10test_utils7greaterELj65ELj1EEvPT_Px.uses_vcc, 1
	.set _Z17flag_heads_kernelIdjN10test_utils7greaterELj65ELj1EEvPT_Px.uses_flat_scratch, 0
	.set _Z17flag_heads_kernelIdjN10test_utils7greaterELj65ELj1EEvPT_Px.has_dyn_sized_stack, 0
	.set _Z17flag_heads_kernelIdjN10test_utils7greaterELj65ELj1EEvPT_Px.has_recursion, 0
	.set _Z17flag_heads_kernelIdjN10test_utils7greaterELj65ELj1EEvPT_Px.has_indirect_call, 0
	.section	.AMDGPU.csdata,"",@progbits
; Kernel info:
; codeLenInByte = 296
; TotalNumSgprs: 13
; NumVgprs: 6
; ScratchSize: 0
; MemoryBound: 0
; FloatMode: 240
; IeeeMode: 1
; LDSByteSize: 1040 bytes/workgroup (compile time only)
; SGPRBlocks: 0
; VGPRBlocks: 0
; NumSGPRsForWavesPerEU: 13
; NumVGPRsForWavesPerEU: 6
; NamedBarCnt: 0
; Occupancy: 16
; WaveLimiterHint : 0
; COMPUTE_PGM_RSRC2:SCRATCH_EN: 0
; COMPUTE_PGM_RSRC2:USER_SGPR: 2
; COMPUTE_PGM_RSRC2:TRAP_HANDLER: 0
; COMPUTE_PGM_RSRC2:TGID_X_EN: 1
; COMPUTE_PGM_RSRC2:TGID_Y_EN: 0
; COMPUTE_PGM_RSRC2:TGID_Z_EN: 0
; COMPUTE_PGM_RSRC2:TIDIG_COMP_CNT: 0
	.section	.text._Z17flag_heads_kernelIib15custom_flag_op1IiELj256ELj1EEvPT_Px,"axG",@progbits,_Z17flag_heads_kernelIib15custom_flag_op1IiELj256ELj1EEvPT_Px,comdat
	.protected	_Z17flag_heads_kernelIib15custom_flag_op1IiELj256ELj1EEvPT_Px ; -- Begin function _Z17flag_heads_kernelIib15custom_flag_op1IiELj256ELj1EEvPT_Px
	.globl	_Z17flag_heads_kernelIib15custom_flag_op1IiELj256ELj1EEvPT_Px
	.p2align	8
	.type	_Z17flag_heads_kernelIib15custom_flag_op1IiELj256ELj1EEvPT_Px,@function
_Z17flag_heads_kernelIib15custom_flag_op1IiELj256ELj1EEvPT_Px: ; @_Z17flag_heads_kernelIib15custom_flag_op1IiELj256ELj1EEvPT_Px
; %bb.0:
	s_load_b128 s[0:3], s[0:1], 0x0
	s_bfe_u32 s4, ttmp6, 0x4000c
	s_and_b32 s5, ttmp6, 15
	s_add_co_i32 s4, s4, 1
	s_getreg_b32 s6, hwreg(HW_REG_IB_STS2, 6, 4)
	s_mul_i32 s4, ttmp9, s4
	v_lshlrev_b32_e32 v2, 2, v0
	s_add_co_i32 s5, s5, s4
	s_cmp_eq_u32 s6, 0
	v_cmp_ne_u32_e32 vcc_lo, 0, v0
	s_cselect_b32 s8, ttmp9, s5
	s_mov_b32 s5, 0
	s_lshl_b32 s4, s8, 8
	s_delay_alu instid0(SALU_CYCLE_1)
	s_lshl_b64 s[6:7], s[4:5], 2
	s_bitcmp0_b32 s8, 0
	s_wait_kmcnt 0x0
	s_add_nc_u64 s[6:7], s[0:1], s[6:7]
	global_load_b32 v1, v0, s[6:7] scale_offset
	s_cbranch_scc1 .LBB17_6
; %bb.1:
	s_wait_xcnt 0x0
	s_add_co_i32 s6, s4, -1
	s_wait_loadcnt 0x0
	ds_store_b32 v2, v1
	s_load_b32 s1, s[0:1], s6 offset:0x0 scale_offset
	s_wait_xcnt 0x0
	s_mov_b32 s0, -1
	s_wait_dscnt 0x0
	s_barrier_signal -1
	s_barrier_wait -1
	s_wait_kmcnt 0x0
	v_mov_b32_e32 v3, s1
	s_and_saveexec_b32 s1, vcc_lo
; %bb.2:
	v_add_nc_u32_e32 v3, -4, v2
	ds_load_b32 v3, v3
; %bb.3:
	s_or_b32 exec_lo, exec_lo, s1
	s_delay_alu instid0(SALU_CYCLE_1)
	s_mov_b32 s1, exec_lo
	s_wait_dscnt 0x0
	v_cmpx_ne_u32_e64 v1, v3
; %bb.4:
	v_mul_lo_u16 v3, 0xcccd, v0
	s_delay_alu instid0(VALU_DEP_1) | instskip(SKIP_1) | instid1(VALU_DEP_1)
	v_lshlrev_b16 v4, 15, v3
	v_lshrrev_b16 v3, 1, v3
	v_or_b32_e32 v3, v3, v4
	s_delay_alu instid0(VALU_DEP_1)
	v_cmp_gt_u16_e32 vcc_lo, 0x199a, v3
	s_or_not1_b32 s0, vcc_lo, exec_lo
; %bb.5:
	s_or_b32 exec_lo, exec_lo, s1
	s_branch .LBB17_12
.LBB17_6:
                                        ; implicit-def: $sgpr0
	s_cbranch_execz .LBB17_12
; %bb.7:
	s_mov_b32 s0, -1
	s_mov_b32 s1, exec_lo
	s_wait_loadcnt 0x0
	ds_store_b32 v2, v1
	s_wait_dscnt 0x0
	s_barrier_signal -1
	s_barrier_wait -1
	v_cmpx_ne_u32_e32 0, v0
	s_cbranch_execz .LBB17_11
; %bb.8:
	v_add_nc_u32_e32 v2, -4, v2
	s_mov_b32 s6, -1
	s_mov_b32 s0, exec_lo
	ds_load_b32 v2, v2
	s_wait_dscnt 0x0
	v_cmpx_ne_u32_e64 v1, v2
; %bb.9:
	v_mul_lo_u16 v1, 0xcccd, v0
	s_delay_alu instid0(VALU_DEP_1) | instskip(SKIP_1) | instid1(VALU_DEP_1)
	v_lshlrev_b16 v2, 15, v1
	v_lshrrev_b16 v1, 1, v1
	v_or_b32_e32 v1, v1, v2
	s_delay_alu instid0(VALU_DEP_1)
	v_cmp_gt_u16_e32 vcc_lo, 0x199a, v1
	s_or_not1_b32 s6, vcc_lo, exec_lo
; %bb.10:
	s_or_b32 exec_lo, exec_lo, s0
	s_delay_alu instid0(SALU_CYCLE_1)
	s_or_not1_b32 s0, s6, exec_lo
.LBB17_11:
	s_or_b32 exec_lo, exec_lo, s1
.LBB17_12:
	s_mov_b32 s1, 0
	v_cndmask_b32_e64 v2, 0, 1, s0
	v_mov_b32_e32 v3, s1
	s_lshl_b64 s[0:1], s[4:5], 3
	s_delay_alu instid0(SALU_CYCLE_1)
	s_add_nc_u64 s[0:1], s[2:3], s[0:1]
	global_store_b64 v0, v[2:3], s[0:1] scale_offset
	s_endpgm
	.section	.rodata,"a",@progbits
	.p2align	6, 0x0
	.amdhsa_kernel _Z17flag_heads_kernelIib15custom_flag_op1IiELj256ELj1EEvPT_Px
		.amdhsa_group_segment_fixed_size 2048
		.amdhsa_private_segment_fixed_size 0
		.amdhsa_kernarg_size 16
		.amdhsa_user_sgpr_count 2
		.amdhsa_user_sgpr_dispatch_ptr 0
		.amdhsa_user_sgpr_queue_ptr 0
		.amdhsa_user_sgpr_kernarg_segment_ptr 1
		.amdhsa_user_sgpr_dispatch_id 0
		.amdhsa_user_sgpr_kernarg_preload_length 0
		.amdhsa_user_sgpr_kernarg_preload_offset 0
		.amdhsa_user_sgpr_private_segment_size 0
		.amdhsa_wavefront_size32 1
		.amdhsa_uses_dynamic_stack 0
		.amdhsa_enable_private_segment 0
		.amdhsa_system_sgpr_workgroup_id_x 1
		.amdhsa_system_sgpr_workgroup_id_y 0
		.amdhsa_system_sgpr_workgroup_id_z 0
		.amdhsa_system_sgpr_workgroup_info 0
		.amdhsa_system_vgpr_workitem_id 0
		.amdhsa_next_free_vgpr 5
		.amdhsa_next_free_sgpr 9
		.amdhsa_named_barrier_count 0
		.amdhsa_reserve_vcc 1
		.amdhsa_float_round_mode_32 0
		.amdhsa_float_round_mode_16_64 0
		.amdhsa_float_denorm_mode_32 3
		.amdhsa_float_denorm_mode_16_64 3
		.amdhsa_fp16_overflow 0
		.amdhsa_memory_ordered 1
		.amdhsa_forward_progress 1
		.amdhsa_inst_pref_size 4
		.amdhsa_round_robin_scheduling 0
		.amdhsa_exception_fp_ieee_invalid_op 0
		.amdhsa_exception_fp_denorm_src 0
		.amdhsa_exception_fp_ieee_div_zero 0
		.amdhsa_exception_fp_ieee_overflow 0
		.amdhsa_exception_fp_ieee_underflow 0
		.amdhsa_exception_fp_ieee_inexact 0
		.amdhsa_exception_int_div_zero 0
	.end_amdhsa_kernel
	.section	.text._Z17flag_heads_kernelIib15custom_flag_op1IiELj256ELj1EEvPT_Px,"axG",@progbits,_Z17flag_heads_kernelIib15custom_flag_op1IiELj256ELj1EEvPT_Px,comdat
.Lfunc_end17:
	.size	_Z17flag_heads_kernelIib15custom_flag_op1IiELj256ELj1EEvPT_Px, .Lfunc_end17-_Z17flag_heads_kernelIib15custom_flag_op1IiELj256ELj1EEvPT_Px
                                        ; -- End function
	.set _Z17flag_heads_kernelIib15custom_flag_op1IiELj256ELj1EEvPT_Px.num_vgpr, 5
	.set _Z17flag_heads_kernelIib15custom_flag_op1IiELj256ELj1EEvPT_Px.num_agpr, 0
	.set _Z17flag_heads_kernelIib15custom_flag_op1IiELj256ELj1EEvPT_Px.numbered_sgpr, 9
	.set _Z17flag_heads_kernelIib15custom_flag_op1IiELj256ELj1EEvPT_Px.num_named_barrier, 0
	.set _Z17flag_heads_kernelIib15custom_flag_op1IiELj256ELj1EEvPT_Px.private_seg_size, 0
	.set _Z17flag_heads_kernelIib15custom_flag_op1IiELj256ELj1EEvPT_Px.uses_vcc, 1
	.set _Z17flag_heads_kernelIib15custom_flag_op1IiELj256ELj1EEvPT_Px.uses_flat_scratch, 0
	.set _Z17flag_heads_kernelIib15custom_flag_op1IiELj256ELj1EEvPT_Px.has_dyn_sized_stack, 0
	.set _Z17flag_heads_kernelIib15custom_flag_op1IiELj256ELj1EEvPT_Px.has_recursion, 0
	.set _Z17flag_heads_kernelIib15custom_flag_op1IiELj256ELj1EEvPT_Px.has_indirect_call, 0
	.section	.AMDGPU.csdata,"",@progbits
; Kernel info:
; codeLenInByte = 440
; TotalNumSgprs: 11
; NumVgprs: 5
; ScratchSize: 0
; MemoryBound: 0
; FloatMode: 240
; IeeeMode: 1
; LDSByteSize: 2048 bytes/workgroup (compile time only)
; SGPRBlocks: 0
; VGPRBlocks: 0
; NumSGPRsForWavesPerEU: 11
; NumVGPRsForWavesPerEU: 5
; NamedBarCnt: 0
; Occupancy: 16
; WaveLimiterHint : 0
; COMPUTE_PGM_RSRC2:SCRATCH_EN: 0
; COMPUTE_PGM_RSRC2:USER_SGPR: 2
; COMPUTE_PGM_RSRC2:TRAP_HANDLER: 0
; COMPUTE_PGM_RSRC2:TGID_X_EN: 1
; COMPUTE_PGM_RSRC2:TGID_Y_EN: 0
; COMPUTE_PGM_RSRC2:TGID_Z_EN: 0
; COMPUTE_PGM_RSRC2:TIDIG_COMP_CNT: 0
	.section	.text._Z17flag_heads_kernelIccN10test_utils10less_equalELj1024ELj1EEvPT_Px,"axG",@progbits,_Z17flag_heads_kernelIccN10test_utils10less_equalELj1024ELj1EEvPT_Px,comdat
	.protected	_Z17flag_heads_kernelIccN10test_utils10less_equalELj1024ELj1EEvPT_Px ; -- Begin function _Z17flag_heads_kernelIccN10test_utils10less_equalELj1024ELj1EEvPT_Px
	.globl	_Z17flag_heads_kernelIccN10test_utils10less_equalELj1024ELj1EEvPT_Px
	.p2align	8
	.type	_Z17flag_heads_kernelIccN10test_utils10less_equalELj1024ELj1EEvPT_Px,@function
_Z17flag_heads_kernelIccN10test_utils10less_equalELj1024ELj1EEvPT_Px: ; @_Z17flag_heads_kernelIccN10test_utils10less_equalELj1024ELj1EEvPT_Px
; %bb.0:
	s_load_b128 s[0:3], s[0:1], 0x0
	s_bfe_u32 s4, ttmp6, 0x4000c
	s_and_b32 s5, ttmp6, 15
	s_add_co_i32 s4, s4, 1
	s_getreg_b32 s6, hwreg(HW_REG_IB_STS2, 6, 4)
	s_mul_i32 s4, ttmp9, s4
	v_cmp_ne_u32_e32 vcc_lo, 0, v0
	s_add_co_i32 s5, s5, s4
	s_cmp_eq_u32 s6, 0
	s_cselect_b32 s8, ttmp9, s5
	s_mov_b32 s5, 0
	s_lshl_b32 s4, s8, 10
	s_bitcmp0_b32 s8, 0
	s_wait_kmcnt 0x0
	s_add_nc_u64 s[6:7], s[0:1], s[4:5]
	global_load_i8 v1, v0, s[6:7]
	s_cbranch_scc1 .LBB18_4
; %bb.1:
	s_wait_xcnt 0x0
	s_add_co_i32 s6, s4, -1
	s_wait_loadcnt 0x0
	ds_store_b8 v0, v1
	v_mov_b32_e32 v2, s6
	global_load_u8 v2, v2, s[0:1]
	s_wait_loadcnt_dscnt 0x0
	s_barrier_signal -1
	s_barrier_wait -1
	s_and_saveexec_b32 s0, vcc_lo
; %bb.2:
	v_add_nc_u32_e32 v2, -1, v0
	ds_load_u8 v2, v2
; %bb.3:
	s_or_b32 exec_lo, exec_lo, s0
	s_wait_dscnt 0x0
	v_bfe_i32 v2, v2, 0, 8
	s_delay_alu instid0(VALU_DEP_1)
	v_cmp_le_i16_e64 s0, v1, v2
	s_branch .LBB18_8
.LBB18_4:
                                        ; implicit-def: $sgpr0
	s_cbranch_execz .LBB18_8
; %bb.5:
	s_mov_b32 s0, -1
	s_mov_b32 s1, exec_lo
	s_wait_loadcnt 0x0
	ds_store_b8 v0, v1
	s_wait_dscnt 0x0
	s_barrier_signal -1
	s_barrier_wait -1
	v_cmpx_ne_u32_e32 0, v0
	s_cbranch_execz .LBB18_7
; %bb.6:
	v_add_nc_u32_e32 v2, -1, v0
	ds_load_i8 v2, v2
	s_wait_dscnt 0x0
	v_cmp_le_i16_e32 vcc_lo, v1, v2
	s_or_not1_b32 s0, vcc_lo, exec_lo
.LBB18_7:
	s_or_b32 exec_lo, exec_lo, s1
.LBB18_8:
	s_mov_b32 s1, 0
	s_delay_alu instid0(VALU_DEP_1) | instskip(SKIP_2) | instid1(SALU_CYCLE_1)
	v_cndmask_b32_e64 v2, 0, 1, s0
	v_mov_b32_e32 v3, s1
	s_lshl_b64 s[0:1], s[4:5], 3
	s_add_nc_u64 s[0:1], s[2:3], s[0:1]
	global_store_b64 v0, v[2:3], s[0:1] scale_offset
	s_endpgm
	.section	.rodata,"a",@progbits
	.p2align	6, 0x0
	.amdhsa_kernel _Z17flag_heads_kernelIccN10test_utils10less_equalELj1024ELj1EEvPT_Px
		.amdhsa_group_segment_fixed_size 2048
		.amdhsa_private_segment_fixed_size 0
		.amdhsa_kernarg_size 16
		.amdhsa_user_sgpr_count 2
		.amdhsa_user_sgpr_dispatch_ptr 0
		.amdhsa_user_sgpr_queue_ptr 0
		.amdhsa_user_sgpr_kernarg_segment_ptr 1
		.amdhsa_user_sgpr_dispatch_id 0
		.amdhsa_user_sgpr_kernarg_preload_length 0
		.amdhsa_user_sgpr_kernarg_preload_offset 0
		.amdhsa_user_sgpr_private_segment_size 0
		.amdhsa_wavefront_size32 1
		.amdhsa_uses_dynamic_stack 0
		.amdhsa_enable_private_segment 0
		.amdhsa_system_sgpr_workgroup_id_x 1
		.amdhsa_system_sgpr_workgroup_id_y 0
		.amdhsa_system_sgpr_workgroup_id_z 0
		.amdhsa_system_sgpr_workgroup_info 0
		.amdhsa_system_vgpr_workitem_id 0
		.amdhsa_next_free_vgpr 4
		.amdhsa_next_free_sgpr 9
		.amdhsa_named_barrier_count 0
		.amdhsa_reserve_vcc 1
		.amdhsa_float_round_mode_32 0
		.amdhsa_float_round_mode_16_64 0
		.amdhsa_float_denorm_mode_32 3
		.amdhsa_float_denorm_mode_16_64 3
		.amdhsa_fp16_overflow 0
		.amdhsa_memory_ordered 1
		.amdhsa_forward_progress 1
		.amdhsa_inst_pref_size 3
		.amdhsa_round_robin_scheduling 0
		.amdhsa_exception_fp_ieee_invalid_op 0
		.amdhsa_exception_fp_denorm_src 0
		.amdhsa_exception_fp_ieee_div_zero 0
		.amdhsa_exception_fp_ieee_overflow 0
		.amdhsa_exception_fp_ieee_underflow 0
		.amdhsa_exception_fp_ieee_inexact 0
		.amdhsa_exception_int_div_zero 0
	.end_amdhsa_kernel
	.section	.text._Z17flag_heads_kernelIccN10test_utils10less_equalELj1024ELj1EEvPT_Px,"axG",@progbits,_Z17flag_heads_kernelIccN10test_utils10less_equalELj1024ELj1EEvPT_Px,comdat
.Lfunc_end18:
	.size	_Z17flag_heads_kernelIccN10test_utils10less_equalELj1024ELj1EEvPT_Px, .Lfunc_end18-_Z17flag_heads_kernelIccN10test_utils10less_equalELj1024ELj1EEvPT_Px
                                        ; -- End function
	.set _Z17flag_heads_kernelIccN10test_utils10less_equalELj1024ELj1EEvPT_Px.num_vgpr, 4
	.set _Z17flag_heads_kernelIccN10test_utils10less_equalELj1024ELj1EEvPT_Px.num_agpr, 0
	.set _Z17flag_heads_kernelIccN10test_utils10less_equalELj1024ELj1EEvPT_Px.numbered_sgpr, 9
	.set _Z17flag_heads_kernelIccN10test_utils10less_equalELj1024ELj1EEvPT_Px.num_named_barrier, 0
	.set _Z17flag_heads_kernelIccN10test_utils10less_equalELj1024ELj1EEvPT_Px.private_seg_size, 0
	.set _Z17flag_heads_kernelIccN10test_utils10less_equalELj1024ELj1EEvPT_Px.uses_vcc, 1
	.set _Z17flag_heads_kernelIccN10test_utils10less_equalELj1024ELj1EEvPT_Px.uses_flat_scratch, 0
	.set _Z17flag_heads_kernelIccN10test_utils10less_equalELj1024ELj1EEvPT_Px.has_dyn_sized_stack, 0
	.set _Z17flag_heads_kernelIccN10test_utils10less_equalELj1024ELj1EEvPT_Px.has_recursion, 0
	.set _Z17flag_heads_kernelIccN10test_utils10less_equalELj1024ELj1EEvPT_Px.has_indirect_call, 0
	.section	.AMDGPU.csdata,"",@progbits
; Kernel info:
; codeLenInByte = 296
; TotalNumSgprs: 11
; NumVgprs: 4
; ScratchSize: 0
; MemoryBound: 0
; FloatMode: 240
; IeeeMode: 1
; LDSByteSize: 2048 bytes/workgroup (compile time only)
; SGPRBlocks: 0
; VGPRBlocks: 0
; NumSGPRsForWavesPerEU: 11
; NumVGPRsForWavesPerEU: 4
; NamedBarCnt: 0
; Occupancy: 16
; WaveLimiterHint : 0
; COMPUTE_PGM_RSRC2:SCRATCH_EN: 0
; COMPUTE_PGM_RSRC2:USER_SGPR: 2
; COMPUTE_PGM_RSRC2:TRAP_HANDLER: 0
; COMPUTE_PGM_RSRC2:TGID_X_EN: 1
; COMPUTE_PGM_RSRC2:TGID_Y_EN: 0
; COMPUTE_PGM_RSRC2:TGID_Z_EN: 0
; COMPUTE_PGM_RSRC2:TIDIG_COMP_CNT: 0
	.section	.text._Z17flag_heads_kernelI12hip_bfloat16iN10test_utils4lessELj256ELj1EEvPT_Px,"axG",@progbits,_Z17flag_heads_kernelI12hip_bfloat16iN10test_utils4lessELj256ELj1EEvPT_Px,comdat
	.protected	_Z17flag_heads_kernelI12hip_bfloat16iN10test_utils4lessELj256ELj1EEvPT_Px ; -- Begin function _Z17flag_heads_kernelI12hip_bfloat16iN10test_utils4lessELj256ELj1EEvPT_Px
	.globl	_Z17flag_heads_kernelI12hip_bfloat16iN10test_utils4lessELj256ELj1EEvPT_Px
	.p2align	8
	.type	_Z17flag_heads_kernelI12hip_bfloat16iN10test_utils4lessELj256ELj1EEvPT_Px,@function
_Z17flag_heads_kernelI12hip_bfloat16iN10test_utils4lessELj256ELj1EEvPT_Px: ; @_Z17flag_heads_kernelI12hip_bfloat16iN10test_utils4lessELj256ELj1EEvPT_Px
; %bb.0:
	s_load_b128 s[0:3], s[0:1], 0x0
	s_bfe_u32 s4, ttmp6, 0x4000c
	s_and_b32 s5, ttmp6, 15
	s_add_co_i32 s4, s4, 1
	s_getreg_b32 s6, hwreg(HW_REG_IB_STS2, 6, 4)
	s_mul_i32 s4, ttmp9, s4
	v_lshlrev_b32_e32 v2, 1, v0
	s_add_co_i32 s5, s5, s4
	s_cmp_eq_u32 s6, 0
	v_cmp_ne_u32_e32 vcc_lo, 0, v0
	s_cselect_b32 s8, ttmp9, s5
	s_mov_b32 s5, 0
	s_lshl_b32 s4, s8, 8
	s_delay_alu instid0(SALU_CYCLE_1)
	s_lshl_b64 s[6:7], s[4:5], 1
	s_bitcmp0_b32 s8, 0
	s_wait_kmcnt 0x0
	s_add_nc_u64 s[6:7], s[0:1], s[6:7]
	global_load_u16 v1, v0, s[6:7] scale_offset
	s_cbranch_scc1 .LBB19_4
; %bb.1:
	s_wait_xcnt 0x0
	s_add_co_i32 s6, s4, -1
	s_wait_loadcnt 0x0
	ds_store_b16 v2, v1
	v_mov_b32_e32 v3, s6
	global_load_u16 v3, v3, s[0:1] scale_offset
	s_wait_loadcnt_dscnt 0x0
	s_barrier_signal -1
	s_barrier_wait -1
	s_and_saveexec_b32 s0, vcc_lo
; %bb.2:
	v_add_nc_u32_e32 v3, -2, v2
	ds_load_u16 v3, v3
; %bb.3:
	s_or_b32 exec_lo, exec_lo, s0
	s_wait_dscnt 0x0
	v_dual_lshlrev_b32 v3, 16, v3 :: v_dual_lshlrev_b32 v4, 16, v1
	s_delay_alu instid0(VALU_DEP_1)
	v_cmp_lt_f32_e64 s0, v4, v3
	s_branch .LBB19_8
.LBB19_4:
                                        ; implicit-def: $sgpr0
	s_cbranch_execz .LBB19_8
; %bb.5:
	s_mov_b32 s0, -1
	s_mov_b32 s1, exec_lo
	s_wait_loadcnt 0x0
	ds_store_b16 v2, v1
	s_wait_dscnt 0x0
	s_barrier_signal -1
	s_barrier_wait -1
	v_cmpx_ne_u32_e32 0, v0
	s_cbranch_execz .LBB19_7
; %bb.6:
	v_dual_add_nc_u32 v2, -2, v2 :: v_dual_lshlrev_b32 v1, 16, v1
	ds_load_u16 v2, v2
	s_wait_dscnt 0x0
	v_lshlrev_b32_e32 v2, 16, v2
	s_delay_alu instid0(VALU_DEP_1)
	v_cmp_lt_f32_e32 vcc_lo, v1, v2
	s_or_not1_b32 s0, vcc_lo, exec_lo
.LBB19_7:
	s_or_b32 exec_lo, exec_lo, s1
.LBB19_8:
	s_mov_b32 s1, 0
	s_delay_alu instid0(VALU_DEP_1) | instskip(SKIP_2) | instid1(SALU_CYCLE_1)
	v_cndmask_b32_e64 v2, 0, 1, s0
	v_mov_b32_e32 v3, s1
	s_lshl_b64 s[0:1], s[4:5], 3
	s_add_nc_u64 s[0:1], s[2:3], s[0:1]
	global_store_b64 v0, v[2:3], s[0:1] scale_offset
	s_endpgm
	.section	.rodata,"a",@progbits
	.p2align	6, 0x0
	.amdhsa_kernel _Z17flag_heads_kernelI12hip_bfloat16iN10test_utils4lessELj256ELj1EEvPT_Px
		.amdhsa_group_segment_fixed_size 1024
		.amdhsa_private_segment_fixed_size 0
		.amdhsa_kernarg_size 16
		.amdhsa_user_sgpr_count 2
		.amdhsa_user_sgpr_dispatch_ptr 0
		.amdhsa_user_sgpr_queue_ptr 0
		.amdhsa_user_sgpr_kernarg_segment_ptr 1
		.amdhsa_user_sgpr_dispatch_id 0
		.amdhsa_user_sgpr_kernarg_preload_length 0
		.amdhsa_user_sgpr_kernarg_preload_offset 0
		.amdhsa_user_sgpr_private_segment_size 0
		.amdhsa_wavefront_size32 1
		.amdhsa_uses_dynamic_stack 0
		.amdhsa_enable_private_segment 0
		.amdhsa_system_sgpr_workgroup_id_x 1
		.amdhsa_system_sgpr_workgroup_id_y 0
		.amdhsa_system_sgpr_workgroup_id_z 0
		.amdhsa_system_sgpr_workgroup_info 0
		.amdhsa_system_vgpr_workitem_id 0
		.amdhsa_next_free_vgpr 5
		.amdhsa_next_free_sgpr 9
		.amdhsa_named_barrier_count 0
		.amdhsa_reserve_vcc 1
		.amdhsa_float_round_mode_32 0
		.amdhsa_float_round_mode_16_64 0
		.amdhsa_float_denorm_mode_32 3
		.amdhsa_float_denorm_mode_16_64 3
		.amdhsa_fp16_overflow 0
		.amdhsa_memory_ordered 1
		.amdhsa_forward_progress 1
		.amdhsa_inst_pref_size 3
		.amdhsa_round_robin_scheduling 0
		.amdhsa_exception_fp_ieee_invalid_op 0
		.amdhsa_exception_fp_denorm_src 0
		.amdhsa_exception_fp_ieee_div_zero 0
		.amdhsa_exception_fp_ieee_overflow 0
		.amdhsa_exception_fp_ieee_underflow 0
		.amdhsa_exception_fp_ieee_inexact 0
		.amdhsa_exception_int_div_zero 0
	.end_amdhsa_kernel
	.section	.text._Z17flag_heads_kernelI12hip_bfloat16iN10test_utils4lessELj256ELj1EEvPT_Px,"axG",@progbits,_Z17flag_heads_kernelI12hip_bfloat16iN10test_utils4lessELj256ELj1EEvPT_Px,comdat
.Lfunc_end19:
	.size	_Z17flag_heads_kernelI12hip_bfloat16iN10test_utils4lessELj256ELj1EEvPT_Px, .Lfunc_end19-_Z17flag_heads_kernelI12hip_bfloat16iN10test_utils4lessELj256ELj1EEvPT_Px
                                        ; -- End function
	.set _Z17flag_heads_kernelI12hip_bfloat16iN10test_utils4lessELj256ELj1EEvPT_Px.num_vgpr, 5
	.set _Z17flag_heads_kernelI12hip_bfloat16iN10test_utils4lessELj256ELj1EEvPT_Px.num_agpr, 0
	.set _Z17flag_heads_kernelI12hip_bfloat16iN10test_utils4lessELj256ELj1EEvPT_Px.numbered_sgpr, 9
	.set _Z17flag_heads_kernelI12hip_bfloat16iN10test_utils4lessELj256ELj1EEvPT_Px.num_named_barrier, 0
	.set _Z17flag_heads_kernelI12hip_bfloat16iN10test_utils4lessELj256ELj1EEvPT_Px.private_seg_size, 0
	.set _Z17flag_heads_kernelI12hip_bfloat16iN10test_utils4lessELj256ELj1EEvPT_Px.uses_vcc, 1
	.set _Z17flag_heads_kernelI12hip_bfloat16iN10test_utils4lessELj256ELj1EEvPT_Px.uses_flat_scratch, 0
	.set _Z17flag_heads_kernelI12hip_bfloat16iN10test_utils4lessELj256ELj1EEvPT_Px.has_dyn_sized_stack, 0
	.set _Z17flag_heads_kernelI12hip_bfloat16iN10test_utils4lessELj256ELj1EEvPT_Px.has_recursion, 0
	.set _Z17flag_heads_kernelI12hip_bfloat16iN10test_utils4lessELj256ELj1EEvPT_Px.has_indirect_call, 0
	.section	.AMDGPU.csdata,"",@progbits
; Kernel info:
; codeLenInByte = 328
; TotalNumSgprs: 11
; NumVgprs: 5
; ScratchSize: 0
; MemoryBound: 0
; FloatMode: 240
; IeeeMode: 1
; LDSByteSize: 1024 bytes/workgroup (compile time only)
; SGPRBlocks: 0
; VGPRBlocks: 0
; NumSGPRsForWavesPerEU: 11
; NumVGPRsForWavesPerEU: 5
; NamedBarCnt: 0
; Occupancy: 16
; WaveLimiterHint : 0
; COMPUTE_PGM_RSRC2:SCRATCH_EN: 0
; COMPUTE_PGM_RSRC2:USER_SGPR: 2
; COMPUTE_PGM_RSRC2:TRAP_HANDLER: 0
; COMPUTE_PGM_RSRC2:TGID_X_EN: 1
; COMPUTE_PGM_RSRC2:TGID_Y_EN: 0
; COMPUTE_PGM_RSRC2:TGID_Z_EN: 0
; COMPUTE_PGM_RSRC2:TIDIG_COMP_CNT: 0
	.section	.text._Z17flag_heads_kernelI6__halfiN10test_utils4lessELj256ELj1EEvPT_Px,"axG",@progbits,_Z17flag_heads_kernelI6__halfiN10test_utils4lessELj256ELj1EEvPT_Px,comdat
	.protected	_Z17flag_heads_kernelI6__halfiN10test_utils4lessELj256ELj1EEvPT_Px ; -- Begin function _Z17flag_heads_kernelI6__halfiN10test_utils4lessELj256ELj1EEvPT_Px
	.globl	_Z17flag_heads_kernelI6__halfiN10test_utils4lessELj256ELj1EEvPT_Px
	.p2align	8
	.type	_Z17flag_heads_kernelI6__halfiN10test_utils4lessELj256ELj1EEvPT_Px,@function
_Z17flag_heads_kernelI6__halfiN10test_utils4lessELj256ELj1EEvPT_Px: ; @_Z17flag_heads_kernelI6__halfiN10test_utils4lessELj256ELj1EEvPT_Px
; %bb.0:
	s_load_b128 s[0:3], s[0:1], 0x0
	s_bfe_u32 s4, ttmp6, 0x4000c
	s_and_b32 s5, ttmp6, 15
	s_add_co_i32 s4, s4, 1
	s_getreg_b32 s6, hwreg(HW_REG_IB_STS2, 6, 4)
	s_mul_i32 s4, ttmp9, s4
	v_lshlrev_b32_e32 v2, 1, v0
	s_add_co_i32 s5, s5, s4
	s_cmp_eq_u32 s6, 0
	v_cmp_ne_u32_e32 vcc_lo, 0, v0
	s_cselect_b32 s8, ttmp9, s5
	s_mov_b32 s5, 0
	s_lshl_b32 s4, s8, 8
	s_delay_alu instid0(SALU_CYCLE_1)
	s_lshl_b64 s[6:7], s[4:5], 1
	s_bitcmp0_b32 s8, 0
	s_wait_kmcnt 0x0
	s_add_nc_u64 s[6:7], s[0:1], s[6:7]
	global_load_u16 v1, v0, s[6:7] scale_offset
	s_cbranch_scc1 .LBB20_4
; %bb.1:
	s_wait_xcnt 0x0
	s_add_co_i32 s6, s4, -1
	s_wait_loadcnt 0x0
	ds_store_b16 v2, v1
	v_mov_b32_e32 v3, s6
	global_load_u16 v3, v3, s[0:1] scale_offset
	s_wait_loadcnt_dscnt 0x0
	s_barrier_signal -1
	s_barrier_wait -1
	s_and_saveexec_b32 s0, vcc_lo
; %bb.2:
	v_add_nc_u32_e32 v3, -2, v2
	ds_load_u16 v3, v3
; %bb.3:
	s_or_b32 exec_lo, exec_lo, s0
	s_wait_dscnt 0x0
	v_cmp_gt_f16_e64 s0, v3, v1
	s_branch .LBB20_8
.LBB20_4:
                                        ; implicit-def: $sgpr0
	s_cbranch_execz .LBB20_8
; %bb.5:
	s_mov_b32 s0, -1
	s_mov_b32 s1, exec_lo
	s_wait_loadcnt 0x0
	ds_store_b16 v2, v1
	s_wait_dscnt 0x0
	s_barrier_signal -1
	s_barrier_wait -1
	v_cmpx_ne_u32_e32 0, v0
	s_cbranch_execz .LBB20_7
; %bb.6:
	v_add_nc_u32_e32 v2, -2, v2
	ds_load_u16 v2, v2
	s_wait_dscnt 0x0
	v_cmp_gt_f16_e32 vcc_lo, v2, v1
	s_or_not1_b32 s0, vcc_lo, exec_lo
.LBB20_7:
	s_or_b32 exec_lo, exec_lo, s1
.LBB20_8:
	s_mov_b32 s1, 0
	s_delay_alu instid0(VALU_DEP_1) | instskip(SKIP_2) | instid1(SALU_CYCLE_1)
	v_cndmask_b32_e64 v2, 0, 1, s0
	v_mov_b32_e32 v3, s1
	s_lshl_b64 s[0:1], s[4:5], 3
	s_add_nc_u64 s[0:1], s[2:3], s[0:1]
	global_store_b64 v0, v[2:3], s[0:1] scale_offset
	s_endpgm
	.section	.rodata,"a",@progbits
	.p2align	6, 0x0
	.amdhsa_kernel _Z17flag_heads_kernelI6__halfiN10test_utils4lessELj256ELj1EEvPT_Px
		.amdhsa_group_segment_fixed_size 1024
		.amdhsa_private_segment_fixed_size 0
		.amdhsa_kernarg_size 16
		.amdhsa_user_sgpr_count 2
		.amdhsa_user_sgpr_dispatch_ptr 0
		.amdhsa_user_sgpr_queue_ptr 0
		.amdhsa_user_sgpr_kernarg_segment_ptr 1
		.amdhsa_user_sgpr_dispatch_id 0
		.amdhsa_user_sgpr_kernarg_preload_length 0
		.amdhsa_user_sgpr_kernarg_preload_offset 0
		.amdhsa_user_sgpr_private_segment_size 0
		.amdhsa_wavefront_size32 1
		.amdhsa_uses_dynamic_stack 0
		.amdhsa_enable_private_segment 0
		.amdhsa_system_sgpr_workgroup_id_x 1
		.amdhsa_system_sgpr_workgroup_id_y 0
		.amdhsa_system_sgpr_workgroup_id_z 0
		.amdhsa_system_sgpr_workgroup_info 0
		.amdhsa_system_vgpr_workitem_id 0
		.amdhsa_next_free_vgpr 4
		.amdhsa_next_free_sgpr 9
		.amdhsa_named_barrier_count 0
		.amdhsa_reserve_vcc 1
		.amdhsa_float_round_mode_32 0
		.amdhsa_float_round_mode_16_64 0
		.amdhsa_float_denorm_mode_32 3
		.amdhsa_float_denorm_mode_16_64 3
		.amdhsa_fp16_overflow 0
		.amdhsa_memory_ordered 1
		.amdhsa_forward_progress 1
		.amdhsa_inst_pref_size 3
		.amdhsa_round_robin_scheduling 0
		.amdhsa_exception_fp_ieee_invalid_op 0
		.amdhsa_exception_fp_denorm_src 0
		.amdhsa_exception_fp_ieee_div_zero 0
		.amdhsa_exception_fp_ieee_overflow 0
		.amdhsa_exception_fp_ieee_underflow 0
		.amdhsa_exception_fp_ieee_inexact 0
		.amdhsa_exception_int_div_zero 0
	.end_amdhsa_kernel
	.section	.text._Z17flag_heads_kernelI6__halfiN10test_utils4lessELj256ELj1EEvPT_Px,"axG",@progbits,_Z17flag_heads_kernelI6__halfiN10test_utils4lessELj256ELj1EEvPT_Px,comdat
.Lfunc_end20:
	.size	_Z17flag_heads_kernelI6__halfiN10test_utils4lessELj256ELj1EEvPT_Px, .Lfunc_end20-_Z17flag_heads_kernelI6__halfiN10test_utils4lessELj256ELj1EEvPT_Px
                                        ; -- End function
	.set _Z17flag_heads_kernelI6__halfiN10test_utils4lessELj256ELj1EEvPT_Px.num_vgpr, 4
	.set _Z17flag_heads_kernelI6__halfiN10test_utils4lessELj256ELj1EEvPT_Px.num_agpr, 0
	.set _Z17flag_heads_kernelI6__halfiN10test_utils4lessELj256ELj1EEvPT_Px.numbered_sgpr, 9
	.set _Z17flag_heads_kernelI6__halfiN10test_utils4lessELj256ELj1EEvPT_Px.num_named_barrier, 0
	.set _Z17flag_heads_kernelI6__halfiN10test_utils4lessELj256ELj1EEvPT_Px.private_seg_size, 0
	.set _Z17flag_heads_kernelI6__halfiN10test_utils4lessELj256ELj1EEvPT_Px.uses_vcc, 1
	.set _Z17flag_heads_kernelI6__halfiN10test_utils4lessELj256ELj1EEvPT_Px.uses_flat_scratch, 0
	.set _Z17flag_heads_kernelI6__halfiN10test_utils4lessELj256ELj1EEvPT_Px.has_dyn_sized_stack, 0
	.set _Z17flag_heads_kernelI6__halfiN10test_utils4lessELj256ELj1EEvPT_Px.has_recursion, 0
	.set _Z17flag_heads_kernelI6__halfiN10test_utils4lessELj256ELj1EEvPT_Px.has_indirect_call, 0
	.section	.AMDGPU.csdata,"",@progbits
; Kernel info:
; codeLenInByte = 296
; TotalNumSgprs: 11
; NumVgprs: 4
; ScratchSize: 0
; MemoryBound: 0
; FloatMode: 240
; IeeeMode: 1
; LDSByteSize: 1024 bytes/workgroup (compile time only)
; SGPRBlocks: 0
; VGPRBlocks: 0
; NumSGPRsForWavesPerEU: 11
; NumVGPRsForWavesPerEU: 4
; NamedBarCnt: 0
; Occupancy: 16
; WaveLimiterHint : 0
; COMPUTE_PGM_RSRC2:SCRATCH_EN: 0
; COMPUTE_PGM_RSRC2:USER_SGPR: 2
; COMPUTE_PGM_RSRC2:TRAP_HANDLER: 0
; COMPUTE_PGM_RSRC2:TGID_X_EN: 1
; COMPUTE_PGM_RSRC2:TGID_Y_EN: 0
; COMPUTE_PGM_RSRC2:TGID_Z_EN: 0
; COMPUTE_PGM_RSRC2:TIDIG_COMP_CNT: 0
	.section	.text._Z17flag_heads_kernelIfiN10test_utils4lessELj256ELj1EEvPT_Px,"axG",@progbits,_Z17flag_heads_kernelIfiN10test_utils4lessELj256ELj1EEvPT_Px,comdat
	.protected	_Z17flag_heads_kernelIfiN10test_utils4lessELj256ELj1EEvPT_Px ; -- Begin function _Z17flag_heads_kernelIfiN10test_utils4lessELj256ELj1EEvPT_Px
	.globl	_Z17flag_heads_kernelIfiN10test_utils4lessELj256ELj1EEvPT_Px
	.p2align	8
	.type	_Z17flag_heads_kernelIfiN10test_utils4lessELj256ELj1EEvPT_Px,@function
_Z17flag_heads_kernelIfiN10test_utils4lessELj256ELj1EEvPT_Px: ; @_Z17flag_heads_kernelIfiN10test_utils4lessELj256ELj1EEvPT_Px
; %bb.0:
	s_load_b128 s[0:3], s[0:1], 0x0
	s_bfe_u32 s4, ttmp6, 0x4000c
	s_and_b32 s5, ttmp6, 15
	s_add_co_i32 s4, s4, 1
	s_getreg_b32 s6, hwreg(HW_REG_IB_STS2, 6, 4)
	s_mul_i32 s4, ttmp9, s4
	v_lshlrev_b32_e32 v2, 2, v0
	s_add_co_i32 s5, s5, s4
	s_cmp_eq_u32 s6, 0
	v_cmp_ne_u32_e32 vcc_lo, 0, v0
	s_cselect_b32 s8, ttmp9, s5
	s_mov_b32 s5, 0
	s_lshl_b32 s4, s8, 8
	s_delay_alu instid0(SALU_CYCLE_1)
	s_lshl_b64 s[6:7], s[4:5], 2
	s_bitcmp0_b32 s8, 0
	s_wait_kmcnt 0x0
	s_add_nc_u64 s[6:7], s[0:1], s[6:7]
	global_load_b32 v1, v0, s[6:7] scale_offset
	s_cbranch_scc1 .LBB21_4
; %bb.1:
	s_wait_xcnt 0x0
	s_add_co_i32 s6, s4, -1
	s_wait_loadcnt 0x0
	ds_store_b32 v2, v1
	s_load_b32 s0, s[0:1], s6 offset:0x0 scale_offset
	s_wait_dscnt 0x0
	s_barrier_signal -1
	s_barrier_wait -1
	s_wait_kmcnt 0x0
	v_mov_b32_e32 v3, s0
	s_and_saveexec_b32 s0, vcc_lo
; %bb.2:
	v_add_nc_u32_e32 v3, -4, v2
	ds_load_b32 v3, v3
; %bb.3:
	s_or_b32 exec_lo, exec_lo, s0
	s_wait_dscnt 0x0
	v_cmp_lt_f32_e64 s0, v1, v3
	s_branch .LBB21_8
.LBB21_4:
                                        ; implicit-def: $sgpr0
	s_cbranch_execz .LBB21_8
; %bb.5:
	s_mov_b32 s0, -1
	s_mov_b32 s1, exec_lo
	s_wait_loadcnt 0x0
	ds_store_b32 v2, v1
	s_wait_dscnt 0x0
	s_barrier_signal -1
	s_barrier_wait -1
	v_cmpx_ne_u32_e32 0, v0
	s_cbranch_execz .LBB21_7
; %bb.6:
	v_add_nc_u32_e32 v2, -4, v2
	ds_load_b32 v2, v2
	s_wait_dscnt 0x0
	v_cmp_lt_f32_e32 vcc_lo, v1, v2
	s_or_not1_b32 s0, vcc_lo, exec_lo
.LBB21_7:
	s_or_b32 exec_lo, exec_lo, s1
.LBB21_8:
	s_mov_b32 s1, 0
	s_delay_alu instid0(VALU_DEP_1) | instskip(SKIP_2) | instid1(SALU_CYCLE_1)
	v_cndmask_b32_e64 v2, 0, 1, s0
	v_mov_b32_e32 v3, s1
	s_lshl_b64 s[0:1], s[4:5], 3
	s_add_nc_u64 s[0:1], s[2:3], s[0:1]
	global_store_b64 v0, v[2:3], s[0:1] scale_offset
	s_endpgm
	.section	.rodata,"a",@progbits
	.p2align	6, 0x0
	.amdhsa_kernel _Z17flag_heads_kernelIfiN10test_utils4lessELj256ELj1EEvPT_Px
		.amdhsa_group_segment_fixed_size 2048
		.amdhsa_private_segment_fixed_size 0
		.amdhsa_kernarg_size 16
		.amdhsa_user_sgpr_count 2
		.amdhsa_user_sgpr_dispatch_ptr 0
		.amdhsa_user_sgpr_queue_ptr 0
		.amdhsa_user_sgpr_kernarg_segment_ptr 1
		.amdhsa_user_sgpr_dispatch_id 0
		.amdhsa_user_sgpr_kernarg_preload_length 0
		.amdhsa_user_sgpr_kernarg_preload_offset 0
		.amdhsa_user_sgpr_private_segment_size 0
		.amdhsa_wavefront_size32 1
		.amdhsa_uses_dynamic_stack 0
		.amdhsa_enable_private_segment 0
		.amdhsa_system_sgpr_workgroup_id_x 1
		.amdhsa_system_sgpr_workgroup_id_y 0
		.amdhsa_system_sgpr_workgroup_id_z 0
		.amdhsa_system_sgpr_workgroup_info 0
		.amdhsa_system_vgpr_workitem_id 0
		.amdhsa_next_free_vgpr 4
		.amdhsa_next_free_sgpr 9
		.amdhsa_named_barrier_count 0
		.amdhsa_reserve_vcc 1
		.amdhsa_float_round_mode_32 0
		.amdhsa_float_round_mode_16_64 0
		.amdhsa_float_denorm_mode_32 3
		.amdhsa_float_denorm_mode_16_64 3
		.amdhsa_fp16_overflow 0
		.amdhsa_memory_ordered 1
		.amdhsa_forward_progress 1
		.amdhsa_inst_pref_size 3
		.amdhsa_round_robin_scheduling 0
		.amdhsa_exception_fp_ieee_invalid_op 0
		.amdhsa_exception_fp_denorm_src 0
		.amdhsa_exception_fp_ieee_div_zero 0
		.amdhsa_exception_fp_ieee_overflow 0
		.amdhsa_exception_fp_ieee_underflow 0
		.amdhsa_exception_fp_ieee_inexact 0
		.amdhsa_exception_int_div_zero 0
	.end_amdhsa_kernel
	.section	.text._Z17flag_heads_kernelIfiN10test_utils4lessELj256ELj1EEvPT_Px,"axG",@progbits,_Z17flag_heads_kernelIfiN10test_utils4lessELj256ELj1EEvPT_Px,comdat
.Lfunc_end21:
	.size	_Z17flag_heads_kernelIfiN10test_utils4lessELj256ELj1EEvPT_Px, .Lfunc_end21-_Z17flag_heads_kernelIfiN10test_utils4lessELj256ELj1EEvPT_Px
                                        ; -- End function
	.set _Z17flag_heads_kernelIfiN10test_utils4lessELj256ELj1EEvPT_Px.num_vgpr, 4
	.set _Z17flag_heads_kernelIfiN10test_utils4lessELj256ELj1EEvPT_Px.num_agpr, 0
	.set _Z17flag_heads_kernelIfiN10test_utils4lessELj256ELj1EEvPT_Px.numbered_sgpr, 9
	.set _Z17flag_heads_kernelIfiN10test_utils4lessELj256ELj1EEvPT_Px.num_named_barrier, 0
	.set _Z17flag_heads_kernelIfiN10test_utils4lessELj256ELj1EEvPT_Px.private_seg_size, 0
	.set _Z17flag_heads_kernelIfiN10test_utils4lessELj256ELj1EEvPT_Px.uses_vcc, 1
	.set _Z17flag_heads_kernelIfiN10test_utils4lessELj256ELj1EEvPT_Px.uses_flat_scratch, 0
	.set _Z17flag_heads_kernelIfiN10test_utils4lessELj256ELj1EEvPT_Px.has_dyn_sized_stack, 0
	.set _Z17flag_heads_kernelIfiN10test_utils4lessELj256ELj1EEvPT_Px.has_recursion, 0
	.set _Z17flag_heads_kernelIfiN10test_utils4lessELj256ELj1EEvPT_Px.has_indirect_call, 0
	.section	.AMDGPU.csdata,"",@progbits
; Kernel info:
; codeLenInByte = 296
; TotalNumSgprs: 11
; NumVgprs: 4
; ScratchSize: 0
; MemoryBound: 0
; FloatMode: 240
; IeeeMode: 1
; LDSByteSize: 2048 bytes/workgroup (compile time only)
; SGPRBlocks: 0
; VGPRBlocks: 0
; NumSGPRsForWavesPerEU: 11
; NumVGPRsForWavesPerEU: 4
; NamedBarCnt: 0
; Occupancy: 16
; WaveLimiterHint : 0
; COMPUTE_PGM_RSRC2:SCRATCH_EN: 0
; COMPUTE_PGM_RSRC2:USER_SGPR: 2
; COMPUTE_PGM_RSRC2:TRAP_HANDLER: 0
; COMPUTE_PGM_RSRC2:TGID_X_EN: 1
; COMPUTE_PGM_RSRC2:TGID_Y_EN: 0
; COMPUTE_PGM_RSRC2:TGID_Z_EN: 0
; COMPUTE_PGM_RSRC2:TIDIG_COMP_CNT: 0
	.section	.text._Z17flag_heads_kernelIibN6hipcub10InequalityELj128ELj1EEvPT_Px,"axG",@progbits,_Z17flag_heads_kernelIibN6hipcub10InequalityELj128ELj1EEvPT_Px,comdat
	.protected	_Z17flag_heads_kernelIibN6hipcub10InequalityELj128ELj1EEvPT_Px ; -- Begin function _Z17flag_heads_kernelIibN6hipcub10InequalityELj128ELj1EEvPT_Px
	.globl	_Z17flag_heads_kernelIibN6hipcub10InequalityELj128ELj1EEvPT_Px
	.p2align	8
	.type	_Z17flag_heads_kernelIibN6hipcub10InequalityELj128ELj1EEvPT_Px,@function
_Z17flag_heads_kernelIibN6hipcub10InequalityELj128ELj1EEvPT_Px: ; @_Z17flag_heads_kernelIibN6hipcub10InequalityELj128ELj1EEvPT_Px
; %bb.0:
	s_load_b128 s[0:3], s[0:1], 0x0
	s_bfe_u32 s4, ttmp6, 0x4000c
	s_and_b32 s5, ttmp6, 15
	s_add_co_i32 s4, s4, 1
	s_getreg_b32 s6, hwreg(HW_REG_IB_STS2, 6, 4)
	s_mul_i32 s4, ttmp9, s4
	v_lshlrev_b32_e32 v2, 2, v0
	s_add_co_i32 s5, s5, s4
	s_cmp_eq_u32 s6, 0
	v_cmp_ne_u32_e32 vcc_lo, 0, v0
	s_cselect_b32 s8, ttmp9, s5
	s_mov_b32 s5, 0
	s_lshl_b32 s4, s8, 7
	s_delay_alu instid0(SALU_CYCLE_1)
	s_lshl_b64 s[6:7], s[4:5], 2
	s_bitcmp0_b32 s8, 0
	s_wait_kmcnt 0x0
	s_add_nc_u64 s[6:7], s[0:1], s[6:7]
	global_load_b32 v1, v0, s[6:7] scale_offset
	s_cbranch_scc1 .LBB22_4
; %bb.1:
	s_wait_xcnt 0x0
	s_add_co_i32 s6, s4, -1
	s_wait_loadcnt 0x0
	ds_store_b32 v2, v1
	s_load_b32 s0, s[0:1], s6 offset:0x0 scale_offset
	s_wait_dscnt 0x0
	s_barrier_signal -1
	s_barrier_wait -1
	s_wait_kmcnt 0x0
	v_mov_b32_e32 v3, s0
	s_and_saveexec_b32 s0, vcc_lo
; %bb.2:
	v_add_nc_u32_e32 v3, -4, v2
	ds_load_b32 v3, v3
; %bb.3:
	s_or_b32 exec_lo, exec_lo, s0
	s_wait_dscnt 0x0
	v_cmp_ne_u32_e64 s0, v1, v3
	s_branch .LBB22_8
.LBB22_4:
                                        ; implicit-def: $sgpr0
	s_cbranch_execz .LBB22_8
; %bb.5:
	s_mov_b32 s0, -1
	s_mov_b32 s1, exec_lo
	s_wait_loadcnt 0x0
	ds_store_b32 v2, v1
	s_wait_dscnt 0x0
	s_barrier_signal -1
	s_barrier_wait -1
	v_cmpx_ne_u32_e32 0, v0
	s_cbranch_execz .LBB22_7
; %bb.6:
	v_add_nc_u32_e32 v2, -4, v2
	ds_load_b32 v2, v2
	s_wait_dscnt 0x0
	v_cmp_ne_u32_e32 vcc_lo, v1, v2
	s_or_not1_b32 s0, vcc_lo, exec_lo
.LBB22_7:
	s_or_b32 exec_lo, exec_lo, s1
.LBB22_8:
	s_mov_b32 s1, 0
	s_delay_alu instid0(VALU_DEP_1) | instskip(SKIP_2) | instid1(SALU_CYCLE_1)
	v_cndmask_b32_e64 v2, 0, 1, s0
	v_mov_b32_e32 v3, s1
	s_lshl_b64 s[0:1], s[4:5], 3
	s_add_nc_u64 s[0:1], s[2:3], s[0:1]
	global_store_b64 v0, v[2:3], s[0:1] scale_offset
	s_endpgm
	.section	.rodata,"a",@progbits
	.p2align	6, 0x0
	.amdhsa_kernel _Z17flag_heads_kernelIibN6hipcub10InequalityELj128ELj1EEvPT_Px
		.amdhsa_group_segment_fixed_size 1024
		.amdhsa_private_segment_fixed_size 0
		.amdhsa_kernarg_size 16
		.amdhsa_user_sgpr_count 2
		.amdhsa_user_sgpr_dispatch_ptr 0
		.amdhsa_user_sgpr_queue_ptr 0
		.amdhsa_user_sgpr_kernarg_segment_ptr 1
		.amdhsa_user_sgpr_dispatch_id 0
		.amdhsa_user_sgpr_kernarg_preload_length 0
		.amdhsa_user_sgpr_kernarg_preload_offset 0
		.amdhsa_user_sgpr_private_segment_size 0
		.amdhsa_wavefront_size32 1
		.amdhsa_uses_dynamic_stack 0
		.amdhsa_enable_private_segment 0
		.amdhsa_system_sgpr_workgroup_id_x 1
		.amdhsa_system_sgpr_workgroup_id_y 0
		.amdhsa_system_sgpr_workgroup_id_z 0
		.amdhsa_system_sgpr_workgroup_info 0
		.amdhsa_system_vgpr_workitem_id 0
		.amdhsa_next_free_vgpr 4
		.amdhsa_next_free_sgpr 9
		.amdhsa_named_barrier_count 0
		.amdhsa_reserve_vcc 1
		.amdhsa_float_round_mode_32 0
		.amdhsa_float_round_mode_16_64 0
		.amdhsa_float_denorm_mode_32 3
		.amdhsa_float_denorm_mode_16_64 3
		.amdhsa_fp16_overflow 0
		.amdhsa_memory_ordered 1
		.amdhsa_forward_progress 1
		.amdhsa_inst_pref_size 3
		.amdhsa_round_robin_scheduling 0
		.amdhsa_exception_fp_ieee_invalid_op 0
		.amdhsa_exception_fp_denorm_src 0
		.amdhsa_exception_fp_ieee_div_zero 0
		.amdhsa_exception_fp_ieee_overflow 0
		.amdhsa_exception_fp_ieee_underflow 0
		.amdhsa_exception_fp_ieee_inexact 0
		.amdhsa_exception_int_div_zero 0
	.end_amdhsa_kernel
	.section	.text._Z17flag_heads_kernelIibN6hipcub10InequalityELj128ELj1EEvPT_Px,"axG",@progbits,_Z17flag_heads_kernelIibN6hipcub10InequalityELj128ELj1EEvPT_Px,comdat
.Lfunc_end22:
	.size	_Z17flag_heads_kernelIibN6hipcub10InequalityELj128ELj1EEvPT_Px, .Lfunc_end22-_Z17flag_heads_kernelIibN6hipcub10InequalityELj128ELj1EEvPT_Px
                                        ; -- End function
	.set _Z17flag_heads_kernelIibN6hipcub10InequalityELj128ELj1EEvPT_Px.num_vgpr, 4
	.set _Z17flag_heads_kernelIibN6hipcub10InequalityELj128ELj1EEvPT_Px.num_agpr, 0
	.set _Z17flag_heads_kernelIibN6hipcub10InequalityELj128ELj1EEvPT_Px.numbered_sgpr, 9
	.set _Z17flag_heads_kernelIibN6hipcub10InequalityELj128ELj1EEvPT_Px.num_named_barrier, 0
	.set _Z17flag_heads_kernelIibN6hipcub10InequalityELj128ELj1EEvPT_Px.private_seg_size, 0
	.set _Z17flag_heads_kernelIibN6hipcub10InequalityELj128ELj1EEvPT_Px.uses_vcc, 1
	.set _Z17flag_heads_kernelIibN6hipcub10InequalityELj128ELj1EEvPT_Px.uses_flat_scratch, 0
	.set _Z17flag_heads_kernelIibN6hipcub10InequalityELj128ELj1EEvPT_Px.has_dyn_sized_stack, 0
	.set _Z17flag_heads_kernelIibN6hipcub10InequalityELj128ELj1EEvPT_Px.has_recursion, 0
	.set _Z17flag_heads_kernelIibN6hipcub10InequalityELj128ELj1EEvPT_Px.has_indirect_call, 0
	.section	.AMDGPU.csdata,"",@progbits
; Kernel info:
; codeLenInByte = 296
; TotalNumSgprs: 11
; NumVgprs: 4
; ScratchSize: 0
; MemoryBound: 0
; FloatMode: 240
; IeeeMode: 1
; LDSByteSize: 1024 bytes/workgroup (compile time only)
; SGPRBlocks: 0
; VGPRBlocks: 0
; NumSGPRsForWavesPerEU: 11
; NumVGPRsForWavesPerEU: 4
; NamedBarCnt: 0
; Occupancy: 16
; WaveLimiterHint : 0
; COMPUTE_PGM_RSRC2:SCRATCH_EN: 0
; COMPUTE_PGM_RSRC2:USER_SGPR: 2
; COMPUTE_PGM_RSRC2:TRAP_HANDLER: 0
; COMPUTE_PGM_RSRC2:TGID_X_EN: 1
; COMPUTE_PGM_RSRC2:TGID_Y_EN: 0
; COMPUTE_PGM_RSRC2:TGID_Z_EN: 0
; COMPUTE_PGM_RSRC2:TIDIG_COMP_CNT: 0
	.section	.text._Z17flag_heads_kernelIjiN6hipcub8EqualityELj64ELj1EEvPT_Px,"axG",@progbits,_Z17flag_heads_kernelIjiN6hipcub8EqualityELj64ELj1EEvPT_Px,comdat
	.protected	_Z17flag_heads_kernelIjiN6hipcub8EqualityELj64ELj1EEvPT_Px ; -- Begin function _Z17flag_heads_kernelIjiN6hipcub8EqualityELj64ELj1EEvPT_Px
	.globl	_Z17flag_heads_kernelIjiN6hipcub8EqualityELj64ELj1EEvPT_Px
	.p2align	8
	.type	_Z17flag_heads_kernelIjiN6hipcub8EqualityELj64ELj1EEvPT_Px,@function
_Z17flag_heads_kernelIjiN6hipcub8EqualityELj64ELj1EEvPT_Px: ; @_Z17flag_heads_kernelIjiN6hipcub8EqualityELj64ELj1EEvPT_Px
; %bb.0:
	s_load_b128 s[0:3], s[0:1], 0x0
	s_bfe_u32 s4, ttmp6, 0x4000c
	s_and_b32 s5, ttmp6, 15
	s_add_co_i32 s4, s4, 1
	s_getreg_b32 s6, hwreg(HW_REG_IB_STS2, 6, 4)
	s_mul_i32 s4, ttmp9, s4
	v_lshlrev_b32_e32 v2, 2, v0
	s_add_co_i32 s5, s5, s4
	s_cmp_eq_u32 s6, 0
	v_cmp_ne_u32_e32 vcc_lo, 0, v0
	s_cselect_b32 s8, ttmp9, s5
	s_mov_b32 s5, 0
	s_lshl_b32 s4, s8, 6
	s_delay_alu instid0(SALU_CYCLE_1)
	s_lshl_b64 s[6:7], s[4:5], 2
	s_bitcmp0_b32 s8, 0
	s_wait_kmcnt 0x0
	s_add_nc_u64 s[6:7], s[0:1], s[6:7]
	global_load_b32 v1, v0, s[6:7] scale_offset
	s_cbranch_scc1 .LBB23_4
; %bb.1:
	s_wait_xcnt 0x0
	s_add_co_i32 s6, s4, -1
	s_wait_loadcnt 0x0
	ds_store_b32 v2, v1
	s_load_b32 s0, s[0:1], s6 offset:0x0 scale_offset
	s_wait_dscnt 0x0
	s_barrier_signal -1
	s_barrier_wait -1
	s_wait_kmcnt 0x0
	v_mov_b32_e32 v3, s0
	s_and_saveexec_b32 s0, vcc_lo
; %bb.2:
	v_add_nc_u32_e32 v3, -4, v2
	ds_load_b32 v3, v3
; %bb.3:
	s_or_b32 exec_lo, exec_lo, s0
	s_wait_dscnt 0x0
	v_cmp_eq_u32_e64 s0, v1, v3
	s_branch .LBB23_8
.LBB23_4:
                                        ; implicit-def: $sgpr0
	s_cbranch_execz .LBB23_8
; %bb.5:
	s_mov_b32 s0, -1
	s_mov_b32 s1, exec_lo
	s_wait_loadcnt 0x0
	ds_store_b32 v2, v1
	s_wait_dscnt 0x0
	s_barrier_signal -1
	s_barrier_wait -1
	v_cmpx_ne_u32_e32 0, v0
	s_cbranch_execz .LBB23_7
; %bb.6:
	v_add_nc_u32_e32 v2, -4, v2
	ds_load_b32 v2, v2
	s_wait_dscnt 0x0
	v_cmp_eq_u32_e32 vcc_lo, v1, v2
	s_or_not1_b32 s0, vcc_lo, exec_lo
.LBB23_7:
	s_or_b32 exec_lo, exec_lo, s1
.LBB23_8:
	s_mov_b32 s1, 0
	s_delay_alu instid0(VALU_DEP_1) | instskip(SKIP_2) | instid1(SALU_CYCLE_1)
	v_cndmask_b32_e64 v2, 0, 1, s0
	v_mov_b32_e32 v3, s1
	s_lshl_b64 s[0:1], s[4:5], 3
	s_add_nc_u64 s[0:1], s[2:3], s[0:1]
	global_store_b64 v0, v[2:3], s[0:1] scale_offset
	s_endpgm
	.section	.rodata,"a",@progbits
	.p2align	6, 0x0
	.amdhsa_kernel _Z17flag_heads_kernelIjiN6hipcub8EqualityELj64ELj1EEvPT_Px
		.amdhsa_group_segment_fixed_size 512
		.amdhsa_private_segment_fixed_size 0
		.amdhsa_kernarg_size 16
		.amdhsa_user_sgpr_count 2
		.amdhsa_user_sgpr_dispatch_ptr 0
		.amdhsa_user_sgpr_queue_ptr 0
		.amdhsa_user_sgpr_kernarg_segment_ptr 1
		.amdhsa_user_sgpr_dispatch_id 0
		.amdhsa_user_sgpr_kernarg_preload_length 0
		.amdhsa_user_sgpr_kernarg_preload_offset 0
		.amdhsa_user_sgpr_private_segment_size 0
		.amdhsa_wavefront_size32 1
		.amdhsa_uses_dynamic_stack 0
		.amdhsa_enable_private_segment 0
		.amdhsa_system_sgpr_workgroup_id_x 1
		.amdhsa_system_sgpr_workgroup_id_y 0
		.amdhsa_system_sgpr_workgroup_id_z 0
		.amdhsa_system_sgpr_workgroup_info 0
		.amdhsa_system_vgpr_workitem_id 0
		.amdhsa_next_free_vgpr 4
		.amdhsa_next_free_sgpr 9
		.amdhsa_named_barrier_count 0
		.amdhsa_reserve_vcc 1
		.amdhsa_float_round_mode_32 0
		.amdhsa_float_round_mode_16_64 0
		.amdhsa_float_denorm_mode_32 3
		.amdhsa_float_denorm_mode_16_64 3
		.amdhsa_fp16_overflow 0
		.amdhsa_memory_ordered 1
		.amdhsa_forward_progress 1
		.amdhsa_inst_pref_size 3
		.amdhsa_round_robin_scheduling 0
		.amdhsa_exception_fp_ieee_invalid_op 0
		.amdhsa_exception_fp_denorm_src 0
		.amdhsa_exception_fp_ieee_div_zero 0
		.amdhsa_exception_fp_ieee_overflow 0
		.amdhsa_exception_fp_ieee_underflow 0
		.amdhsa_exception_fp_ieee_inexact 0
		.amdhsa_exception_int_div_zero 0
	.end_amdhsa_kernel
	.section	.text._Z17flag_heads_kernelIjiN6hipcub8EqualityELj64ELj1EEvPT_Px,"axG",@progbits,_Z17flag_heads_kernelIjiN6hipcub8EqualityELj64ELj1EEvPT_Px,comdat
.Lfunc_end23:
	.size	_Z17flag_heads_kernelIjiN6hipcub8EqualityELj64ELj1EEvPT_Px, .Lfunc_end23-_Z17flag_heads_kernelIjiN6hipcub8EqualityELj64ELj1EEvPT_Px
                                        ; -- End function
	.set _Z17flag_heads_kernelIjiN6hipcub8EqualityELj64ELj1EEvPT_Px.num_vgpr, 4
	.set _Z17flag_heads_kernelIjiN6hipcub8EqualityELj64ELj1EEvPT_Px.num_agpr, 0
	.set _Z17flag_heads_kernelIjiN6hipcub8EqualityELj64ELj1EEvPT_Px.numbered_sgpr, 9
	.set _Z17flag_heads_kernelIjiN6hipcub8EqualityELj64ELj1EEvPT_Px.num_named_barrier, 0
	.set _Z17flag_heads_kernelIjiN6hipcub8EqualityELj64ELj1EEvPT_Px.private_seg_size, 0
	.set _Z17flag_heads_kernelIjiN6hipcub8EqualityELj64ELj1EEvPT_Px.uses_vcc, 1
	.set _Z17flag_heads_kernelIjiN6hipcub8EqualityELj64ELj1EEvPT_Px.uses_flat_scratch, 0
	.set _Z17flag_heads_kernelIjiN6hipcub8EqualityELj64ELj1EEvPT_Px.has_dyn_sized_stack, 0
	.set _Z17flag_heads_kernelIjiN6hipcub8EqualityELj64ELj1EEvPT_Px.has_recursion, 0
	.set _Z17flag_heads_kernelIjiN6hipcub8EqualityELj64ELj1EEvPT_Px.has_indirect_call, 0
	.section	.AMDGPU.csdata,"",@progbits
; Kernel info:
; codeLenInByte = 296
; TotalNumSgprs: 11
; NumVgprs: 4
; ScratchSize: 0
; MemoryBound: 0
; FloatMode: 240
; IeeeMode: 1
; LDSByteSize: 512 bytes/workgroup (compile time only)
; SGPRBlocks: 0
; VGPRBlocks: 0
; NumSGPRsForWavesPerEU: 11
; NumVGPRsForWavesPerEU: 4
; NamedBarCnt: 0
; Occupancy: 16
; WaveLimiterHint : 0
; COMPUTE_PGM_RSRC2:SCRATCH_EN: 0
; COMPUTE_PGM_RSRC2:USER_SGPR: 2
; COMPUTE_PGM_RSRC2:TRAP_HANDLER: 0
; COMPUTE_PGM_RSRC2:TGID_X_EN: 1
; COMPUTE_PGM_RSRC2:TGID_Y_EN: 0
; COMPUTE_PGM_RSRC2:TGID_Z_EN: 0
; COMPUTE_PGM_RSRC2:TIDIG_COMP_CNT: 0
	.section	.text._Z17flag_tails_kernelIsb15custom_flag_op1IsELj234ELj9EEvPT_Px,"axG",@progbits,_Z17flag_tails_kernelIsb15custom_flag_op1IsELj234ELj9EEvPT_Px,comdat
	.protected	_Z17flag_tails_kernelIsb15custom_flag_op1IsELj234ELj9EEvPT_Px ; -- Begin function _Z17flag_tails_kernelIsb15custom_flag_op1IsELj234ELj9EEvPT_Px
	.globl	_Z17flag_tails_kernelIsb15custom_flag_op1IsELj234ELj9EEvPT_Px
	.p2align	8
	.type	_Z17flag_tails_kernelIsb15custom_flag_op1IsELj234ELj9EEvPT_Px,@function
_Z17flag_tails_kernelIsb15custom_flag_op1IsELj234ELj9EEvPT_Px: ; @_Z17flag_tails_kernelIsb15custom_flag_op1IsELj234ELj9EEvPT_Px
; %bb.0:
	s_load_b128 s[4:7], s[0:1], 0x0
	s_wait_xcnt 0x0
	s_bfe_u32 s0, ttmp6, 0x4000c
	s_and_b32 s1, ttmp6, 15
	s_add_co_i32 s0, s0, 1
	s_getreg_b32 s2, hwreg(HW_REG_IB_STS2, 6, 4)
	s_mul_i32 s0, ttmp9, s0
	v_mul_u32_u24_e32 v1, 9, v0
	s_add_co_i32 s1, s1, s0
	s_cmp_eq_u32 s2, 0
	s_mov_b32 s3, 0
	s_cselect_b32 s8, ttmp9, s1
	v_lshlrev_b32_e32 v7, 1, v1
	s_mul_i32 s2, s8, 0x83a
	s_delay_alu instid0(SALU_CYCLE_1)
	s_lshl_b64 s[0:1], s[2:3], 1
	s_bitcmp1_b32 s8, 0
	s_wait_kmcnt 0x0
	s_add_nc_u64 s[0:1], s[4:5], s[0:1]
	s_clause 0x1
	global_load_b128 v[2:5], v7, s[0:1]
	global_load_u16 v6, v1, s[0:1] offset:16 scale_offset
	s_wait_xcnt 0x0
	s_cselect_b32 s0, -1, 0
	v_lshlrev_b32_e32 v7, 1, v0
	s_and_b32 vcc_lo, exec_lo, s0
	s_wait_loadcnt 0x1
	v_dual_lshrrev_b32 v11, 16, v2 :: v_dual_lshrrev_b32 v10, 16, v3
	v_dual_lshrrev_b32 v9, 16, v4 :: v_dual_lshrrev_b32 v8, 16, v5
	s_delay_alu instid0(VALU_DEP_2)
	v_cmp_ne_u16_e64 s0, v11, v2
	s_cbranch_vccz .LBB24_22
; %bb.1:
	s_mov_b32 s8, -1
	s_mov_b32 s1, -1
	ds_store_b16 v7, v2 offset:468
	s_and_saveexec_b32 s9, s0
; %bb.2:
	v_mad_u16 v12, 0xcccd, v1, 0xcccd
	s_delay_alu instid0(VALU_DEP_1) | instskip(SKIP_1) | instid1(VALU_DEP_1)
	v_lshlrev_b16 v13, 15, v12
	v_lshrrev_b16 v12, 1, v12
	v_or_b32_e32 v12, v12, v13
	s_delay_alu instid0(VALU_DEP_1)
	v_cmp_gt_u16_e32 vcc_lo, 0x199a, v12
	s_or_not1_b32 s1, vcc_lo, exec_lo
; %bb.3:
	s_or_b32 exec_lo, exec_lo, s9
	s_delay_alu instid0(SALU_CYCLE_1)
	s_mov_b32 s0, exec_lo
	v_cmpx_ne_u16_e64 v3, v11
; %bb.4:
	s_movk_i32 s8, 0xcccd
	s_delay_alu instid0(SALU_CYCLE_1) | instskip(NEXT) | instid1(VALU_DEP_1)
	v_mad_u16 v12, v1, s8, 0x999a
	v_lshlrev_b16 v13, 15, v12
	v_lshrrev_b16 v12, 1, v12
	s_delay_alu instid0(VALU_DEP_1) | instskip(NEXT) | instid1(VALU_DEP_1)
	v_or_b32_e32 v12, v12, v13
	v_cmp_gt_u16_e32 vcc_lo, 0x199a, v12
	s_or_not1_b32 s8, vcc_lo, exec_lo
; %bb.5:
	s_or_b32 exec_lo, exec_lo, s0
	s_mov_b32 s9, -1
	s_mov_b32 s0, -1
	s_mov_b32 s10, exec_lo
	v_cmpx_ne_u16_e64 v10, v3
; %bb.6:
	s_movk_i32 s0, 0xcccd
	s_delay_alu instid0(SALU_CYCLE_1) | instskip(NEXT) | instid1(VALU_DEP_1)
	v_mad_u16 v12, v1, s0, 0x6667
	v_lshlrev_b16 v13, 15, v12
	v_lshrrev_b16 v12, 1, v12
	s_delay_alu instid0(VALU_DEP_1) | instskip(NEXT) | instid1(VALU_DEP_1)
	v_or_b32_e32 v12, v12, v13
	v_cmp_gt_u16_e32 vcc_lo, 0x199a, v12
	s_or_not1_b32 s0, vcc_lo, exec_lo
; %bb.7:
	s_or_b32 exec_lo, exec_lo, s10
	s_delay_alu instid0(SALU_CYCLE_1)
	s_mov_b32 s10, exec_lo
	v_cmpx_ne_u16_e64 v4, v10
; %bb.8:
	s_movk_i32 s9, 0xcccd
	s_delay_alu instid0(SALU_CYCLE_1) | instskip(NEXT) | instid1(VALU_DEP_1)
	v_mad_u16 v12, v1, s9, 0x3334
	v_lshlrev_b16 v13, 15, v12
	v_lshrrev_b16 v12, 1, v12
	s_delay_alu instid0(VALU_DEP_1) | instskip(NEXT) | instid1(VALU_DEP_1)
	v_or_b32_e32 v12, v12, v13
	v_cmp_gt_u16_e32 vcc_lo, 0x199a, v12
	s_or_not1_b32 s9, vcc_lo, exec_lo
; %bb.9:
	s_or_b32 exec_lo, exec_lo, s10
	s_mov_b32 s11, -1
	s_mov_b32 s10, -1
	s_mov_b32 s12, exec_lo
	v_cmpx_ne_u16_e64 v9, v4
; %bb.10:
	v_mad_u16 v12, 0xcccd, v1, 1
	s_delay_alu instid0(VALU_DEP_1) | instskip(SKIP_1) | instid1(VALU_DEP_1)
	v_lshlrev_b16 v13, 15, v12
	v_lshrrev_b16 v12, 1, v12
	v_or_b32_e32 v12, v12, v13
	s_delay_alu instid0(VALU_DEP_1)
	v_cmp_gt_u16_e32 vcc_lo, 0x199a, v12
	s_or_not1_b32 s10, vcc_lo, exec_lo
; %bb.11:
	s_or_b32 exec_lo, exec_lo, s12
	s_delay_alu instid0(SALU_CYCLE_1)
	s_mov_b32 s12, exec_lo
	v_cmpx_ne_u16_e64 v5, v9
; %bb.12:
	s_movk_i32 s11, 0xcccd
	s_delay_alu instid0(SALU_CYCLE_1) | instskip(NEXT) | instid1(VALU_DEP_1)
	v_mad_u16 v12, v1, s11, 0xccce
	v_lshlrev_b16 v13, 15, v12
	v_lshrrev_b16 v12, 1, v12
	s_delay_alu instid0(VALU_DEP_1) | instskip(NEXT) | instid1(VALU_DEP_1)
	v_or_b32_e32 v12, v12, v13
	v_cmp_gt_u16_e32 vcc_lo, 0x199a, v12
	s_or_not1_b32 s11, vcc_lo, exec_lo
; %bb.13:
	s_or_b32 exec_lo, exec_lo, s12
	s_mov_b32 s12, -1
	s_mov_b32 s13, -1
	s_mov_b32 s14, exec_lo
	v_cmpx_ne_u16_e64 v8, v5
; %bb.14:
	s_movk_i32 s13, 0xcccd
	s_delay_alu instid0(SALU_CYCLE_1) | instskip(NEXT) | instid1(VALU_DEP_1)
	v_mad_u16 v12, v1, s13, 0x999b
	v_lshlrev_b16 v13, 15, v12
	v_lshrrev_b16 v12, 1, v12
	s_delay_alu instid0(VALU_DEP_1) | instskip(NEXT) | instid1(VALU_DEP_1)
	v_or_b32_e32 v12, v12, v13
	v_cmp_gt_u16_e32 vcc_lo, 0x199a, v12
	s_or_not1_b32 s13, vcc_lo, exec_lo
; %bb.15:
	s_or_b32 exec_lo, exec_lo, s14
	s_delay_alu instid0(SALU_CYCLE_1)
	s_mov_b32 s14, exec_lo
	s_wait_loadcnt 0x0
	v_cmpx_ne_u16_e64 v6, v8
; %bb.16:
	s_movk_i32 s12, 0xcccd
	s_delay_alu instid0(SALU_CYCLE_1) | instskip(NEXT) | instid1(VALU_DEP_1)
	v_mad_u16 v12, v1, s12, 0x6668
	v_lshlrev_b16 v13, 15, v12
	v_lshrrev_b16 v12, 1, v12
	s_delay_alu instid0(VALU_DEP_1) | instskip(NEXT) | instid1(VALU_DEP_1)
	v_or_b32_e32 v12, v12, v13
	v_cmp_gt_u16_e32 vcc_lo, 0x199a, v12
	s_or_not1_b32 s12, vcc_lo, exec_lo
; %bb.17:
	s_or_b32 exec_lo, exec_lo, s14
	v_cndmask_b32_e64 v13, 0, 1, s11
	v_cndmask_b32_e64 v15, 0, 1, s8
	;; [unrolled: 1-line block ×8, first 2 shown]
	v_lshlrev_b16 v15, 8, v15
	v_lshlrev_b16 v16, 8, v16
	;; [unrolled: 1-line block ×4, first 2 shown]
	s_mov_b32 s0, exec_lo
	s_wait_dscnt 0x0
	v_or_b32_e32 v16, v17, v16
	v_or_b32_e32 v13, v14, v13
	;; [unrolled: 1-line block ×4, first 2 shown]
	s_barrier_signal -1
	s_barrier_wait -1
	s_delay_alu instid0(VALU_DEP_2) | instskip(NEXT) | instid1(VALU_DEP_2)
	v_lshlrev_b32_e32 v12, 16, v12
	v_and_b32_e32 v14, 0xffff, v15
	v_lshlrev_b32_e32 v15, 16, v16
	v_and_b32_e32 v16, 0xffff, v13
	s_delay_alu instid0(VALU_DEP_2) | instskip(NEXT) | instid1(VALU_DEP_2)
	v_or_b32_e32 v13, v14, v15
	v_dual_mov_b32 v14, 1 :: v_dual_bitop2_b32 v12, v16, v12 bitop3:0x54
	v_cmpx_ne_u32_e32 0xe9, v0
	s_cbranch_execz .LBB24_21
; %bb.18:
	ds_load_u16 v14, v7 offset:470
	s_mov_b32 s8, -1
	s_mov_b32 s1, exec_lo
	s_wait_dscnt 0x0
	v_cmpx_ne_u16_e64 v14, v6
; %bb.19:
	s_movk_i32 s8, 0xcccd
	s_delay_alu instid0(SALU_CYCLE_1) | instskip(NEXT) | instid1(VALU_DEP_1)
	v_mad_u16 v14, v1, s8, 0x3335
	v_lshlrev_b16 v15, 15, v14
	v_lshrrev_b16 v14, 1, v14
	s_delay_alu instid0(VALU_DEP_1) | instskip(NEXT) | instid1(VALU_DEP_1)
	v_or_b32_e32 v14, v14, v15
	v_cmp_gt_u16_e32 vcc_lo, 0x199a, v14
	s_or_not1_b32 s8, vcc_lo, exec_lo
; %bb.20:
	s_or_b32 exec_lo, exec_lo, s1
	v_cndmask_b32_e64 v14, 0, 1, s8
.LBB24_21:
	s_or_b32 exec_lo, exec_lo, s0
	s_branch .LBB24_44
.LBB24_22:
                                        ; implicit-def: $vgpr14
                                        ; implicit-def: $vgpr12
                                        ; implicit-def: $vgpr13
	s_cbranch_execz .LBB24_44
; %bb.23:
	s_add_co_i32 s0, s2, 0x83a
	s_mov_b32 s1, -1
	v_mov_b32_e32 v12, s0
	s_mov_b32 s0, -1
	ds_store_b16 v7, v2 offset:468
	global_load_u16 v12, v12, s[4:5] scale_offset
	s_wait_xcnt 0x0
	s_mov_b32 s4, exec_lo
	v_cmpx_ne_u16_e64 v11, v2
; %bb.24:
	v_mad_u16 v2, 0xcccd, v1, 0xcccd
	s_delay_alu instid0(VALU_DEP_1) | instskip(SKIP_1) | instid1(VALU_DEP_1)
	v_lshlrev_b16 v13, 15, v2
	v_lshrrev_b16 v2, 1, v2
	v_or_b32_e32 v2, v2, v13
	s_delay_alu instid0(VALU_DEP_1)
	v_cmp_gt_u16_e32 vcc_lo, 0x199a, v2
	s_or_not1_b32 s1, vcc_lo, exec_lo
; %bb.25:
	s_or_b32 exec_lo, exec_lo, s4
	s_delay_alu instid0(SALU_CYCLE_1)
	s_mov_b32 s4, exec_lo
	v_cmpx_ne_u16_e64 v3, v11
; %bb.26:
	s_movk_i32 s0, 0xcccd
	s_delay_alu instid0(SALU_CYCLE_1) | instskip(NEXT) | instid1(VALU_DEP_1)
	v_mad_u16 v2, v1, s0, 0x999a
	v_lshlrev_b16 v11, 15, v2
	v_lshrrev_b16 v2, 1, v2
	s_delay_alu instid0(VALU_DEP_1) | instskip(NEXT) | instid1(VALU_DEP_1)
	v_or_b32_e32 v2, v2, v11
	v_cmp_gt_u16_e32 vcc_lo, 0x199a, v2
	s_or_not1_b32 s0, vcc_lo, exec_lo
; %bb.27:
	s_or_b32 exec_lo, exec_lo, s4
	s_mov_b32 s4, -1
	s_mov_b32 s5, -1
	s_mov_b32 s8, exec_lo
	v_cmpx_ne_u16_e64 v10, v3
; %bb.28:
	s_movk_i32 s5, 0xcccd
	s_delay_alu instid0(SALU_CYCLE_1) | instskip(NEXT) | instid1(VALU_DEP_1)
	v_mad_u16 v2, v1, s5, 0x6667
	v_lshlrev_b16 v3, 15, v2
	v_lshrrev_b16 v2, 1, v2
	s_delay_alu instid0(VALU_DEP_1) | instskip(NEXT) | instid1(VALU_DEP_1)
	v_or_b32_e32 v2, v2, v3
	v_cmp_gt_u16_e32 vcc_lo, 0x199a, v2
	s_or_not1_b32 s5, vcc_lo, exec_lo
; %bb.29:
	s_or_b32 exec_lo, exec_lo, s8
	s_delay_alu instid0(SALU_CYCLE_1)
	s_mov_b32 s8, exec_lo
	v_cmpx_ne_u16_e64 v4, v10
; %bb.30:
	s_movk_i32 s4, 0xcccd
	s_delay_alu instid0(SALU_CYCLE_1) | instskip(NEXT) | instid1(VALU_DEP_1)
	v_mad_u16 v2, v1, s4, 0x3334
	v_lshlrev_b16 v3, 15, v2
	v_lshrrev_b16 v2, 1, v2
	s_delay_alu instid0(VALU_DEP_1) | instskip(NEXT) | instid1(VALU_DEP_1)
	v_or_b32_e32 v2, v2, v3
	v_cmp_gt_u16_e32 vcc_lo, 0x199a, v2
	s_or_not1_b32 s4, vcc_lo, exec_lo
; %bb.31:
	s_or_b32 exec_lo, exec_lo, s8
	s_mov_b32 s8, -1
	s_mov_b32 s9, -1
	s_mov_b32 s10, exec_lo
	v_cmpx_ne_u16_e64 v9, v4
; %bb.32:
	v_mad_u16 v2, 0xcccd, v1, 1
	s_delay_alu instid0(VALU_DEP_1) | instskip(SKIP_1) | instid1(VALU_DEP_1)
	v_lshlrev_b16 v3, 15, v2
	v_lshrrev_b16 v2, 1, v2
	v_or_b32_e32 v2, v2, v3
	s_delay_alu instid0(VALU_DEP_1)
	v_cmp_gt_u16_e32 vcc_lo, 0x199a, v2
	s_or_not1_b32 s9, vcc_lo, exec_lo
; %bb.33:
	s_or_b32 exec_lo, exec_lo, s10
	s_delay_alu instid0(SALU_CYCLE_1)
	s_mov_b32 s10, exec_lo
	v_cmpx_ne_u16_e64 v5, v9
; %bb.34:
	s_movk_i32 s8, 0xcccd
	s_delay_alu instid0(SALU_CYCLE_1) | instskip(NEXT) | instid1(VALU_DEP_1)
	v_mad_u16 v2, v1, s8, 0xccce
	v_lshlrev_b16 v3, 15, v2
	v_lshrrev_b16 v2, 1, v2
	s_delay_alu instid0(VALU_DEP_1) | instskip(NEXT) | instid1(VALU_DEP_1)
	v_or_b32_e32 v2, v2, v3
	v_cmp_gt_u16_e32 vcc_lo, 0x199a, v2
	s_or_not1_b32 s8, vcc_lo, exec_lo
; %bb.35:
	s_or_b32 exec_lo, exec_lo, s10
	s_mov_b32 s11, -1
	s_mov_b32 s10, -1
	s_mov_b32 s12, exec_lo
	v_cmpx_ne_u16_e64 v8, v5
; %bb.36:
	s_movk_i32 s10, 0xcccd
	s_delay_alu instid0(SALU_CYCLE_1) | instskip(NEXT) | instid1(VALU_DEP_1)
	v_mad_u16 v2, v1, s10, 0x999b
	v_lshlrev_b16 v3, 15, v2
	v_lshrrev_b16 v2, 1, v2
	s_delay_alu instid0(VALU_DEP_1) | instskip(NEXT) | instid1(VALU_DEP_1)
	v_or_b32_e32 v2, v2, v3
	v_cmp_gt_u16_e32 vcc_lo, 0x199a, v2
	s_or_not1_b32 s10, vcc_lo, exec_lo
; %bb.37:
	s_or_b32 exec_lo, exec_lo, s12
	s_delay_alu instid0(SALU_CYCLE_1)
	s_mov_b32 s12, exec_lo
	s_wait_loadcnt 0x1
	v_cmpx_ne_u16_e64 v6, v8
; %bb.38:
	s_movk_i32 s11, 0xcccd
	s_delay_alu instid0(SALU_CYCLE_1) | instskip(NEXT) | instid1(VALU_DEP_1)
	v_mad_u16 v2, v1, s11, 0x6668
	v_lshlrev_b16 v3, 15, v2
	v_lshrrev_b16 v2, 1, v2
	s_delay_alu instid0(VALU_DEP_1) | instskip(NEXT) | instid1(VALU_DEP_1)
	v_or_b32_e32 v2, v2, v3
	v_cmp_gt_u16_e32 vcc_lo, 0x199a, v2
	s_or_not1_b32 s11, vcc_lo, exec_lo
; %bb.39:
	s_or_b32 exec_lo, exec_lo, s12
	s_delay_alu instid0(SALU_CYCLE_1)
	s_mov_b32 s12, exec_lo
	s_wait_loadcnt_dscnt 0x0
	s_barrier_signal -1
	s_barrier_wait -1
	v_cmpx_ne_u32_e32 0xe9, v0
; %bb.40:
	ds_load_u16 v12, v7 offset:470
; %bb.41:
	s_or_b32 exec_lo, exec_lo, s12
	s_mov_b32 s12, -1
	s_mov_b32 s13, exec_lo
	s_wait_dscnt 0x0
	v_cmpx_ne_u16_e64 v12, v6
; %bb.42:
	s_movk_i32 s12, 0xcccd
	s_delay_alu instid0(SALU_CYCLE_1) | instskip(NEXT) | instid1(VALU_DEP_1)
	v_mad_u16 v0, v1, s12, 0x3335
	v_lshlrev_b16 v2, 15, v0
	v_lshrrev_b16 v0, 1, v0
	s_delay_alu instid0(VALU_DEP_1) | instskip(NEXT) | instid1(VALU_DEP_1)
	v_or_b32_e32 v0, v0, v2
	v_cmp_gt_u16_e32 vcc_lo, 0x199a, v0
	s_or_not1_b32 s12, vcc_lo, exec_lo
; %bb.43:
	s_or_b32 exec_lo, exec_lo, s13
	v_cndmask_b32_e64 v2, 0, 1, s0
	v_cndmask_b32_e64 v4, 0, 1, s4
	;; [unrolled: 1-line block ×8, first 2 shown]
	v_lshlrev_b16 v2, 8, v2
	v_lshlrev_b16 v4, 8, v4
	;; [unrolled: 1-line block ×4, first 2 shown]
	v_cndmask_b32_e64 v14, 0, 1, s12
	v_or_b32_e32 v0, v0, v2
	v_or_b32_e32 v2, v3, v4
	;; [unrolled: 1-line block ×4, first 2 shown]
	s_delay_alu instid0(VALU_DEP_2) | instskip(NEXT) | instid1(VALU_DEP_2)
	v_and_b32_e32 v3, 0xffff, v3
	v_dual_lshlrev_b32 v4, 16, v4 :: v_dual_lshlrev_b32 v2, 16, v2
	v_and_b32_e32 v0, 0xffff, v0
	s_delay_alu instid0(VALU_DEP_2) | instskip(NEXT) | instid1(VALU_DEP_2)
	v_or_b32_e32 v12, v3, v4
	v_or_b32_e32 v13, v0, v2
.LBB24_44:
	v_dual_mov_b32 v3, 0 :: v_dual_lshlrev_b32 v0, 3, v1
	s_delay_alu instid0(VALU_DEP_2) | instskip(SKIP_2) | instid1(VALU_DEP_3)
	v_and_b32_e32 v2, 0xff, v13
	v_bfe_u32 v4, v13, 8, 8
	s_lshl_b64 s[0:1], s[2:3], 3
	v_mov_b32_e32 v5, v3
	s_add_nc_u64 s[0:1], s[6:7], s[0:1]
	global_store_b128 v0, v[2:5], s[0:1]
	s_wait_xcnt 0x0
	v_lshrrev_b32_e32 v4, 24, v13
	v_bfe_u32 v2, v13, 16, 8
	global_store_b128 v0, v[2:5], s[0:1] offset:16
	s_wait_xcnt 0x0
	v_and_b32_e32 v2, 0xff, v12
	v_bfe_u32 v4, v12, 8, 8
	global_store_b128 v0, v[2:5], s[0:1] offset:32
	s_wait_xcnt 0x0
	v_lshrrev_b32_e32 v4, 24, v12
	v_bfe_u32 v2, v12, 16, 8
	global_store_b128 v0, v[2:5], s[0:1] offset:48
	s_wait_xcnt 0x0
	v_and_b32_e32 v2, 0xff, v14
	global_store_b64 v1, v[2:3], s[0:1] offset:64 scale_offset
	s_endpgm
	.section	.rodata,"a",@progbits
	.p2align	6, 0x0
	.amdhsa_kernel _Z17flag_tails_kernelIsb15custom_flag_op1IsELj234ELj9EEvPT_Px
		.amdhsa_group_segment_fixed_size 936
		.amdhsa_private_segment_fixed_size 0
		.amdhsa_kernarg_size 16
		.amdhsa_user_sgpr_count 2
		.amdhsa_user_sgpr_dispatch_ptr 0
		.amdhsa_user_sgpr_queue_ptr 0
		.amdhsa_user_sgpr_kernarg_segment_ptr 1
		.amdhsa_user_sgpr_dispatch_id 0
		.amdhsa_user_sgpr_kernarg_preload_length 0
		.amdhsa_user_sgpr_kernarg_preload_offset 0
		.amdhsa_user_sgpr_private_segment_size 0
		.amdhsa_wavefront_size32 1
		.amdhsa_uses_dynamic_stack 0
		.amdhsa_enable_private_segment 0
		.amdhsa_system_sgpr_workgroup_id_x 1
		.amdhsa_system_sgpr_workgroup_id_y 0
		.amdhsa_system_sgpr_workgroup_id_z 0
		.amdhsa_system_sgpr_workgroup_info 0
		.amdhsa_system_vgpr_workitem_id 0
		.amdhsa_next_free_vgpr 20
		.amdhsa_next_free_sgpr 15
		.amdhsa_named_barrier_count 0
		.amdhsa_reserve_vcc 1
		.amdhsa_float_round_mode_32 0
		.amdhsa_float_round_mode_16_64 0
		.amdhsa_float_denorm_mode_32 3
		.amdhsa_float_denorm_mode_16_64 3
		.amdhsa_fp16_overflow 0
		.amdhsa_memory_ordered 1
		.amdhsa_forward_progress 1
		.amdhsa_inst_pref_size 18
		.amdhsa_round_robin_scheduling 0
		.amdhsa_exception_fp_ieee_invalid_op 0
		.amdhsa_exception_fp_denorm_src 0
		.amdhsa_exception_fp_ieee_div_zero 0
		.amdhsa_exception_fp_ieee_overflow 0
		.amdhsa_exception_fp_ieee_underflow 0
		.amdhsa_exception_fp_ieee_inexact 0
		.amdhsa_exception_int_div_zero 0
	.end_amdhsa_kernel
	.section	.text._Z17flag_tails_kernelIsb15custom_flag_op1IsELj234ELj9EEvPT_Px,"axG",@progbits,_Z17flag_tails_kernelIsb15custom_flag_op1IsELj234ELj9EEvPT_Px,comdat
.Lfunc_end24:
	.size	_Z17flag_tails_kernelIsb15custom_flag_op1IsELj234ELj9EEvPT_Px, .Lfunc_end24-_Z17flag_tails_kernelIsb15custom_flag_op1IsELj234ELj9EEvPT_Px
                                        ; -- End function
	.set _Z17flag_tails_kernelIsb15custom_flag_op1IsELj234ELj9EEvPT_Px.num_vgpr, 20
	.set _Z17flag_tails_kernelIsb15custom_flag_op1IsELj234ELj9EEvPT_Px.num_agpr, 0
	.set _Z17flag_tails_kernelIsb15custom_flag_op1IsELj234ELj9EEvPT_Px.numbered_sgpr, 15
	.set _Z17flag_tails_kernelIsb15custom_flag_op1IsELj234ELj9EEvPT_Px.num_named_barrier, 0
	.set _Z17flag_tails_kernelIsb15custom_flag_op1IsELj234ELj9EEvPT_Px.private_seg_size, 0
	.set _Z17flag_tails_kernelIsb15custom_flag_op1IsELj234ELj9EEvPT_Px.uses_vcc, 1
	.set _Z17flag_tails_kernelIsb15custom_flag_op1IsELj234ELj9EEvPT_Px.uses_flat_scratch, 0
	.set _Z17flag_tails_kernelIsb15custom_flag_op1IsELj234ELj9EEvPT_Px.has_dyn_sized_stack, 0
	.set _Z17flag_tails_kernelIsb15custom_flag_op1IsELj234ELj9EEvPT_Px.has_recursion, 0
	.set _Z17flag_tails_kernelIsb15custom_flag_op1IsELj234ELj9EEvPT_Px.has_indirect_call, 0
	.section	.AMDGPU.csdata,"",@progbits
; Kernel info:
; codeLenInByte = 2200
; TotalNumSgprs: 17
; NumVgprs: 20
; ScratchSize: 0
; MemoryBound: 0
; FloatMode: 240
; IeeeMode: 1
; LDSByteSize: 936 bytes/workgroup (compile time only)
; SGPRBlocks: 0
; VGPRBlocks: 1
; NumSGPRsForWavesPerEU: 17
; NumVGPRsForWavesPerEU: 20
; NamedBarCnt: 0
; Occupancy: 16
; WaveLimiterHint : 0
; COMPUTE_PGM_RSRC2:SCRATCH_EN: 0
; COMPUTE_PGM_RSRC2:USER_SGPR: 2
; COMPUTE_PGM_RSRC2:TRAP_HANDLER: 0
; COMPUTE_PGM_RSRC2:TGID_X_EN: 1
; COMPUTE_PGM_RSRC2:TGID_Y_EN: 0
; COMPUTE_PGM_RSRC2:TGID_Z_EN: 0
; COMPUTE_PGM_RSRC2:TIDIG_COMP_CNT: 0
	.section	.text._Z17flag_tails_kernelItiN10test_utils7greaterELj100ELj3EEvPT_Px,"axG",@progbits,_Z17flag_tails_kernelItiN10test_utils7greaterELj100ELj3EEvPT_Px,comdat
	.protected	_Z17flag_tails_kernelItiN10test_utils7greaterELj100ELj3EEvPT_Px ; -- Begin function _Z17flag_tails_kernelItiN10test_utils7greaterELj100ELj3EEvPT_Px
	.globl	_Z17flag_tails_kernelItiN10test_utils7greaterELj100ELj3EEvPT_Px
	.p2align	8
	.type	_Z17flag_tails_kernelItiN10test_utils7greaterELj100ELj3EEvPT_Px,@function
_Z17flag_tails_kernelItiN10test_utils7greaterELj100ELj3EEvPT_Px: ; @_Z17flag_tails_kernelItiN10test_utils7greaterELj100ELj3EEvPT_Px
; %bb.0:
	s_load_b128 s[4:7], s[0:1], 0x0
	s_wait_xcnt 0x0
	s_bfe_u32 s0, ttmp6, 0x4000c
	s_and_b32 s1, ttmp6, 15
	s_add_co_i32 s0, s0, 1
	s_getreg_b32 s2, hwreg(HW_REG_IB_STS2, 6, 4)
	s_mul_i32 s0, ttmp9, s0
	v_mul_u32_u24_e32 v1, 3, v0
	s_add_co_i32 s1, s1, s0
	s_cmp_eq_u32 s2, 0
	s_mov_b32 s3, 0
	s_cselect_b32 s8, ttmp9, s1
	v_dual_lshlrev_b32 v2, 1, v1 :: v_dual_lshlrev_b32 v8, 1, v0
	s_mul_i32 s2, s8, 0x12c
	s_delay_alu instid0(SALU_CYCLE_1)
	s_lshl_b64 s[0:1], s[2:3], 1
	s_bitcmp1_b32 s8, 0
	s_wait_kmcnt 0x0
	s_add_nc_u64 s[0:1], s[4:5], s[0:1]
	s_clause 0x1
	global_load_b32 v3, v2, s[0:1]
	global_load_b32 v5, v2, s[0:1] offset:2
	s_wait_xcnt 0x0
	s_cselect_b32 s0, -1, 0
	v_cmp_ne_u32_e64 s1, 0x63, v0
	s_and_b32 vcc_lo, exec_lo, s0
	s_wait_loadcnt 0x0
	v_cmp_gt_u16_e64 s0, v5, v3
	v_lshrrev_b32_e32 v7, 16, v5
	s_cbranch_vccz .LBB25_4
; %bb.1:
	v_mov_b32_e32 v6, 1
	ds_store_b16 v8, v3 offset:200
	v_cmp_gt_u16_e32 vcc_lo, v7, v5
	s_wait_dscnt 0x0
	s_barrier_signal -1
	s_barrier_wait -1
	s_and_saveexec_b32 s8, s1
	s_cbranch_execz .LBB25_3
; %bb.2:
	ds_load_u16 v2, v8 offset:202
	s_wait_dscnt 0x0
	v_cmp_gt_u16_e64 s1, v2, v7
	s_delay_alu instid0(VALU_DEP_1)
	v_cndmask_b32_e64 v6, 0, 1, s1
.LBB25_3:
	s_or_b32 exec_lo, exec_lo, s8
	v_cndmask_b32_e64 v2, 0, 1, s0
	v_cndmask_b32_e64 v4, 0, 1, vcc_lo
	s_cbranch_execz .LBB25_5
	s_branch .LBB25_8
.LBB25_4:
                                        ; implicit-def: $vgpr6
                                        ; implicit-def: $vgpr4
.LBB25_5:
	s_add_co_i32 s0, s2, 0x12c
	ds_store_b16 v8, v3 offset:200
	v_mov_b32_e32 v2, s0
	s_mov_b32 s0, exec_lo
	global_load_u16 v6, v2, s[4:5] scale_offset
	s_wait_loadcnt_dscnt 0x0
	s_barrier_signal -1
	s_barrier_wait -1
	v_cmpx_ne_u32_e32 0x63, v0
; %bb.6:
	ds_load_u16 v6, v8 offset:202
; %bb.7:
	s_or_b32 exec_lo, exec_lo, s0
	v_lshrrev_b32_e32 v0, 16, v3
	v_cmp_gt_u16_e32 vcc_lo, v5, v3
	v_cndmask_b32_e64 v2, 0, 1, vcc_lo
	s_delay_alu instid0(VALU_DEP_3)
	v_cmp_gt_u16_e32 vcc_lo, v7, v0
	v_cndmask_b32_e64 v4, 0, 1, vcc_lo
	s_wait_dscnt 0x0
	v_cmp_gt_u16_e32 vcc_lo, v6, v7
	v_cndmask_b32_e64 v6, 0, 1, vcc_lo
.LBB25_8:
	s_delay_alu instid0(VALU_DEP_2) | instskip(NEXT) | instid1(VALU_DEP_2)
	v_dual_lshlrev_b32 v0, 3, v1 :: v_dual_ashrrev_i32 v3, 31, v2
	v_dual_ashrrev_i32 v5, 31, v4 :: v_dual_ashrrev_i32 v7, 31, v6
	s_lshl_b64 s[0:1], s[2:3], 3
	s_delay_alu instid0(SALU_CYCLE_1)
	s_add_nc_u64 s[0:1], s[6:7], s[0:1]
	s_clause 0x1
	global_store_b128 v0, v[2:5], s[0:1]
	global_store_b64 v1, v[6:7], s[0:1] offset:16 scale_offset
	s_endpgm
	.section	.rodata,"a",@progbits
	.p2align	6, 0x0
	.amdhsa_kernel _Z17flag_tails_kernelItiN10test_utils7greaterELj100ELj3EEvPT_Px
		.amdhsa_group_segment_fixed_size 400
		.amdhsa_private_segment_fixed_size 0
		.amdhsa_kernarg_size 16
		.amdhsa_user_sgpr_count 2
		.amdhsa_user_sgpr_dispatch_ptr 0
		.amdhsa_user_sgpr_queue_ptr 0
		.amdhsa_user_sgpr_kernarg_segment_ptr 1
		.amdhsa_user_sgpr_dispatch_id 0
		.amdhsa_user_sgpr_kernarg_preload_length 0
		.amdhsa_user_sgpr_kernarg_preload_offset 0
		.amdhsa_user_sgpr_private_segment_size 0
		.amdhsa_wavefront_size32 1
		.amdhsa_uses_dynamic_stack 0
		.amdhsa_enable_private_segment 0
		.amdhsa_system_sgpr_workgroup_id_x 1
		.amdhsa_system_sgpr_workgroup_id_y 0
		.amdhsa_system_sgpr_workgroup_id_z 0
		.amdhsa_system_sgpr_workgroup_info 0
		.amdhsa_system_vgpr_workitem_id 0
		.amdhsa_next_free_vgpr 9
		.amdhsa_next_free_sgpr 9
		.amdhsa_named_barrier_count 0
		.amdhsa_reserve_vcc 1
		.amdhsa_float_round_mode_32 0
		.amdhsa_float_round_mode_16_64 0
		.amdhsa_float_denorm_mode_32 3
		.amdhsa_float_denorm_mode_16_64 3
		.amdhsa_fp16_overflow 0
		.amdhsa_memory_ordered 1
		.amdhsa_forward_progress 1
		.amdhsa_inst_pref_size 4
		.amdhsa_round_robin_scheduling 0
		.amdhsa_exception_fp_ieee_invalid_op 0
		.amdhsa_exception_fp_denorm_src 0
		.amdhsa_exception_fp_ieee_div_zero 0
		.amdhsa_exception_fp_ieee_overflow 0
		.amdhsa_exception_fp_ieee_underflow 0
		.amdhsa_exception_fp_ieee_inexact 0
		.amdhsa_exception_int_div_zero 0
	.end_amdhsa_kernel
	.section	.text._Z17flag_tails_kernelItiN10test_utils7greaterELj100ELj3EEvPT_Px,"axG",@progbits,_Z17flag_tails_kernelItiN10test_utils7greaterELj100ELj3EEvPT_Px,comdat
.Lfunc_end25:
	.size	_Z17flag_tails_kernelItiN10test_utils7greaterELj100ELj3EEvPT_Px, .Lfunc_end25-_Z17flag_tails_kernelItiN10test_utils7greaterELj100ELj3EEvPT_Px
                                        ; -- End function
	.set _Z17flag_tails_kernelItiN10test_utils7greaterELj100ELj3EEvPT_Px.num_vgpr, 9
	.set _Z17flag_tails_kernelItiN10test_utils7greaterELj100ELj3EEvPT_Px.num_agpr, 0
	.set _Z17flag_tails_kernelItiN10test_utils7greaterELj100ELj3EEvPT_Px.numbered_sgpr, 9
	.set _Z17flag_tails_kernelItiN10test_utils7greaterELj100ELj3EEvPT_Px.num_named_barrier, 0
	.set _Z17flag_tails_kernelItiN10test_utils7greaterELj100ELj3EEvPT_Px.private_seg_size, 0
	.set _Z17flag_tails_kernelItiN10test_utils7greaterELj100ELj3EEvPT_Px.uses_vcc, 1
	.set _Z17flag_tails_kernelItiN10test_utils7greaterELj100ELj3EEvPT_Px.uses_flat_scratch, 0
	.set _Z17flag_tails_kernelItiN10test_utils7greaterELj100ELj3EEvPT_Px.has_dyn_sized_stack, 0
	.set _Z17flag_tails_kernelItiN10test_utils7greaterELj100ELj3EEvPT_Px.has_recursion, 0
	.set _Z17flag_tails_kernelItiN10test_utils7greaterELj100ELj3EEvPT_Px.has_indirect_call, 0
	.section	.AMDGPU.csdata,"",@progbits
; Kernel info:
; codeLenInByte = 452
; TotalNumSgprs: 11
; NumVgprs: 9
; ScratchSize: 0
; MemoryBound: 0
; FloatMode: 240
; IeeeMode: 1
; LDSByteSize: 400 bytes/workgroup (compile time only)
; SGPRBlocks: 0
; VGPRBlocks: 0
; NumSGPRsForWavesPerEU: 11
; NumVGPRsForWavesPerEU: 9
; NamedBarCnt: 0
; Occupancy: 16
; WaveLimiterHint : 0
; COMPUTE_PGM_RSRC2:SCRATCH_EN: 0
; COMPUTE_PGM_RSRC2:USER_SGPR: 2
; COMPUTE_PGM_RSRC2:TRAP_HANDLER: 0
; COMPUTE_PGM_RSRC2:TGID_X_EN: 1
; COMPUTE_PGM_RSRC2:TGID_Y_EN: 0
; COMPUTE_PGM_RSRC2:TGID_Z_EN: 0
; COMPUTE_PGM_RSRC2:TIDIG_COMP_CNT: 0
	.section	.text._Z17flag_tails_kernelI12hip_bfloat16iN10test_utils7greaterELj37ELj3EEvPT_Px,"axG",@progbits,_Z17flag_tails_kernelI12hip_bfloat16iN10test_utils7greaterELj37ELj3EEvPT_Px,comdat
	.protected	_Z17flag_tails_kernelI12hip_bfloat16iN10test_utils7greaterELj37ELj3EEvPT_Px ; -- Begin function _Z17flag_tails_kernelI12hip_bfloat16iN10test_utils7greaterELj37ELj3EEvPT_Px
	.globl	_Z17flag_tails_kernelI12hip_bfloat16iN10test_utils7greaterELj37ELj3EEvPT_Px
	.p2align	8
	.type	_Z17flag_tails_kernelI12hip_bfloat16iN10test_utils7greaterELj37ELj3EEvPT_Px,@function
_Z17flag_tails_kernelI12hip_bfloat16iN10test_utils7greaterELj37ELj3EEvPT_Px: ; @_Z17flag_tails_kernelI12hip_bfloat16iN10test_utils7greaterELj37ELj3EEvPT_Px
; %bb.0:
	s_load_b128 s[4:7], s[0:1], 0x0
	s_wait_xcnt 0x0
	s_bfe_u32 s0, ttmp6, 0x4000c
	s_and_b32 s1, ttmp6, 15
	s_add_co_i32 s0, s0, 1
	s_getreg_b32 s2, hwreg(HW_REG_IB_STS2, 6, 4)
	s_mul_i32 s0, ttmp9, s0
	v_mul_u32_u24_e32 v1, 3, v0
	s_add_co_i32 s1, s1, s0
	s_cmp_eq_u32 s2, 0
	s_mov_b32 s3, 0
	s_cselect_b32 s8, ttmp9, s1
	v_dual_lshlrev_b32 v2, 1, v1 :: v_dual_lshlrev_b32 v9, 1, v0
	s_mul_i32 s2, s8, 0x6f
	s_delay_alu instid0(SALU_CYCLE_1)
	s_lshl_b64 s[0:1], s[2:3], 1
	s_bitcmp1_b32 s8, 0
	s_wait_kmcnt 0x0
	s_add_nc_u64 s[0:1], s[4:5], s[0:1]
	s_clause 0x1
	global_load_b32 v10, v2, s[0:1]
	global_load_b32 v3, v2, s[0:1] offset:2
	s_wait_xcnt 0x0
	s_cselect_b32 s0, -1, 0
	s_delay_alu instid0(SALU_CYCLE_1)
	s_and_b32 vcc_lo, exec_lo, s0
	v_cmp_ne_u32_e64 s0, 36, v0
	s_wait_loadcnt 0x1
	v_and_b32_e32 v8, 0xffff0000, v10
	v_lshlrev_b32_e32 v7, 16, v10
	s_wait_loadcnt 0x0
	v_and_b32_e32 v5, 0xffff0000, v3
	s_cbranch_vccz .LBB26_4
; %bb.1:
	s_delay_alu instid0(VALU_DEP_1)
	v_cmp_lt_f32_e32 vcc_lo, v8, v5
	v_mov_b32_e32 v6, 1
	ds_store_b16 v9, v10 offset:74
	s_wait_dscnt 0x0
	s_barrier_signal -1
	v_cndmask_b32_e64 v4, 0, 1, vcc_lo
	v_cmp_lt_f32_e32 vcc_lo, v7, v8
	s_barrier_wait -1
	v_cndmask_b32_e64 v2, 0, 1, vcc_lo
	s_and_saveexec_b32 s1, s0
	s_cbranch_execz .LBB26_3
; %bb.2:
	ds_load_u16 v6, v9 offset:76
	s_wait_dscnt 0x0
	v_lshlrev_b32_e32 v6, 16, v6
	s_delay_alu instid0(VALU_DEP_1)
	v_cmp_lt_f32_e32 vcc_lo, v5, v6
	v_cndmask_b32_e64 v6, 0, 1, vcc_lo
.LBB26_3:
	s_or_b32 exec_lo, exec_lo, s1
	s_cbranch_execz .LBB26_5
	s_branch .LBB26_8
.LBB26_4:
                                        ; implicit-def: $vgpr6
                                        ; implicit-def: $vgpr4
.LBB26_5:
	s_add_co_i32 s0, s2, 0x6f
	ds_store_b16 v9, v10 offset:74
	v_mov_b32_e32 v2, s0
	s_mov_b32 s0, exec_lo
	global_load_u16 v2, v2, s[4:5] scale_offset
	s_wait_loadcnt_dscnt 0x0
	s_barrier_signal -1
	s_barrier_wait -1
	v_cmpx_ne_u32_e32 36, v0
; %bb.6:
	ds_load_u16 v2, v9 offset:76
; %bb.7:
	s_or_b32 exec_lo, exec_lo, s0
	s_wait_dscnt 0x0
	v_dual_lshlrev_b32 v0, 16, v3 :: v_dual_lshlrev_b32 v3, 16, v2
	v_cmp_lt_f32_e32 vcc_lo, v8, v5
	v_cndmask_b32_e64 v4, 0, 1, vcc_lo
	s_delay_alu instid0(VALU_DEP_3)
	v_cmp_lt_f32_e32 vcc_lo, v7, v0
	v_cndmask_b32_e64 v2, 0, 1, vcc_lo
	v_cmp_lt_f32_e32 vcc_lo, v5, v3
	v_cndmask_b32_e64 v6, 0, 1, vcc_lo
.LBB26_8:
	s_delay_alu instid0(VALU_DEP_3) | instskip(NEXT) | instid1(VALU_DEP_2)
	v_dual_lshlrev_b32 v0, 3, v1 :: v_dual_ashrrev_i32 v3, 31, v2
	v_dual_ashrrev_i32 v5, 31, v4 :: v_dual_ashrrev_i32 v7, 31, v6
	s_lshl_b64 s[0:1], s[2:3], 3
	s_delay_alu instid0(SALU_CYCLE_1)
	s_add_nc_u64 s[0:1], s[6:7], s[0:1]
	s_clause 0x1
	global_store_b128 v0, v[2:5], s[0:1]
	global_store_b64 v1, v[6:7], s[0:1] offset:16 scale_offset
	s_endpgm
	.section	.rodata,"a",@progbits
	.p2align	6, 0x0
	.amdhsa_kernel _Z17flag_tails_kernelI12hip_bfloat16iN10test_utils7greaterELj37ELj3EEvPT_Px
		.amdhsa_group_segment_fixed_size 148
		.amdhsa_private_segment_fixed_size 0
		.amdhsa_kernarg_size 16
		.amdhsa_user_sgpr_count 2
		.amdhsa_user_sgpr_dispatch_ptr 0
		.amdhsa_user_sgpr_queue_ptr 0
		.amdhsa_user_sgpr_kernarg_segment_ptr 1
		.amdhsa_user_sgpr_dispatch_id 0
		.amdhsa_user_sgpr_kernarg_preload_length 0
		.amdhsa_user_sgpr_kernarg_preload_offset 0
		.amdhsa_user_sgpr_private_segment_size 0
		.amdhsa_wavefront_size32 1
		.amdhsa_uses_dynamic_stack 0
		.amdhsa_enable_private_segment 0
		.amdhsa_system_sgpr_workgroup_id_x 1
		.amdhsa_system_sgpr_workgroup_id_y 0
		.amdhsa_system_sgpr_workgroup_id_z 0
		.amdhsa_system_sgpr_workgroup_info 0
		.amdhsa_system_vgpr_workitem_id 0
		.amdhsa_next_free_vgpr 11
		.amdhsa_next_free_sgpr 9
		.amdhsa_named_barrier_count 0
		.amdhsa_reserve_vcc 1
		.amdhsa_float_round_mode_32 0
		.amdhsa_float_round_mode_16_64 0
		.amdhsa_float_denorm_mode_32 3
		.amdhsa_float_denorm_mode_16_64 3
		.amdhsa_fp16_overflow 0
		.amdhsa_memory_ordered 1
		.amdhsa_forward_progress 1
		.amdhsa_inst_pref_size 4
		.amdhsa_round_robin_scheduling 0
		.amdhsa_exception_fp_ieee_invalid_op 0
		.amdhsa_exception_fp_denorm_src 0
		.amdhsa_exception_fp_ieee_div_zero 0
		.amdhsa_exception_fp_ieee_overflow 0
		.amdhsa_exception_fp_ieee_underflow 0
		.amdhsa_exception_fp_ieee_inexact 0
		.amdhsa_exception_int_div_zero 0
	.end_amdhsa_kernel
	.section	.text._Z17flag_tails_kernelI12hip_bfloat16iN10test_utils7greaterELj37ELj3EEvPT_Px,"axG",@progbits,_Z17flag_tails_kernelI12hip_bfloat16iN10test_utils7greaterELj37ELj3EEvPT_Px,comdat
.Lfunc_end26:
	.size	_Z17flag_tails_kernelI12hip_bfloat16iN10test_utils7greaterELj37ELj3EEvPT_Px, .Lfunc_end26-_Z17flag_tails_kernelI12hip_bfloat16iN10test_utils7greaterELj37ELj3EEvPT_Px
                                        ; -- End function
	.set _Z17flag_tails_kernelI12hip_bfloat16iN10test_utils7greaterELj37ELj3EEvPT_Px.num_vgpr, 11
	.set _Z17flag_tails_kernelI12hip_bfloat16iN10test_utils7greaterELj37ELj3EEvPT_Px.num_agpr, 0
	.set _Z17flag_tails_kernelI12hip_bfloat16iN10test_utils7greaterELj37ELj3EEvPT_Px.numbered_sgpr, 9
	.set _Z17flag_tails_kernelI12hip_bfloat16iN10test_utils7greaterELj37ELj3EEvPT_Px.num_named_barrier, 0
	.set _Z17flag_tails_kernelI12hip_bfloat16iN10test_utils7greaterELj37ELj3EEvPT_Px.private_seg_size, 0
	.set _Z17flag_tails_kernelI12hip_bfloat16iN10test_utils7greaterELj37ELj3EEvPT_Px.uses_vcc, 1
	.set _Z17flag_tails_kernelI12hip_bfloat16iN10test_utils7greaterELj37ELj3EEvPT_Px.uses_flat_scratch, 0
	.set _Z17flag_tails_kernelI12hip_bfloat16iN10test_utils7greaterELj37ELj3EEvPT_Px.has_dyn_sized_stack, 0
	.set _Z17flag_tails_kernelI12hip_bfloat16iN10test_utils7greaterELj37ELj3EEvPT_Px.has_recursion, 0
	.set _Z17flag_tails_kernelI12hip_bfloat16iN10test_utils7greaterELj37ELj3EEvPT_Px.has_indirect_call, 0
	.section	.AMDGPU.csdata,"",@progbits
; Kernel info:
; codeLenInByte = 476
; TotalNumSgprs: 11
; NumVgprs: 11
; ScratchSize: 0
; MemoryBound: 0
; FloatMode: 240
; IeeeMode: 1
; LDSByteSize: 148 bytes/workgroup (compile time only)
; SGPRBlocks: 0
; VGPRBlocks: 0
; NumSGPRsForWavesPerEU: 11
; NumVGPRsForWavesPerEU: 11
; NamedBarCnt: 0
; Occupancy: 16
; WaveLimiterHint : 0
; COMPUTE_PGM_RSRC2:SCRATCH_EN: 0
; COMPUTE_PGM_RSRC2:USER_SGPR: 2
; COMPUTE_PGM_RSRC2:TRAP_HANDLER: 0
; COMPUTE_PGM_RSRC2:TGID_X_EN: 1
; COMPUTE_PGM_RSRC2:TGID_Y_EN: 0
; COMPUTE_PGM_RSRC2:TGID_Z_EN: 0
; COMPUTE_PGM_RSRC2:TIDIG_COMP_CNT: 0
	.section	.text._Z17flag_tails_kernelI6__halfiN10test_utils7greaterELj37ELj5EEvPT_Px,"axG",@progbits,_Z17flag_tails_kernelI6__halfiN10test_utils7greaterELj37ELj5EEvPT_Px,comdat
	.protected	_Z17flag_tails_kernelI6__halfiN10test_utils7greaterELj37ELj5EEvPT_Px ; -- Begin function _Z17flag_tails_kernelI6__halfiN10test_utils7greaterELj37ELj5EEvPT_Px
	.globl	_Z17flag_tails_kernelI6__halfiN10test_utils7greaterELj37ELj5EEvPT_Px
	.p2align	8
	.type	_Z17flag_tails_kernelI6__halfiN10test_utils7greaterELj37ELj5EEvPT_Px,@function
_Z17flag_tails_kernelI6__halfiN10test_utils7greaterELj37ELj5EEvPT_Px: ; @_Z17flag_tails_kernelI6__halfiN10test_utils7greaterELj37ELj5EEvPT_Px
; %bb.0:
	s_load_b128 s[4:7], s[0:1], 0x0
	s_wait_xcnt 0x0
	s_bfe_u32 s0, ttmp6, 0x4000c
	s_and_b32 s1, ttmp6, 15
	s_add_co_i32 s0, s0, 1
	s_getreg_b32 s2, hwreg(HW_REG_IB_STS2, 6, 4)
	s_mul_i32 s0, ttmp9, s0
	v_mul_u32_u24_e32 v1, 5, v0
	s_add_co_i32 s1, s1, s0
	s_cmp_eq_u32 s2, 0
	s_mov_b32 s3, 0
	s_cselect_b32 s8, ttmp9, s1
	v_lshlrev_b32_e32 v2, 1, v1
	s_mul_i32 s2, s8, 0xb9
	s_delay_alu instid0(SALU_CYCLE_1)
	s_lshl_b64 s[0:1], s[2:3], 1
	s_bitcmp1_b32 s8, 0
	s_wait_kmcnt 0x0
	s_add_nc_u64 s[0:1], s[4:5], s[0:1]
	s_clause 0x1
	global_load_b64 v[10:11], v2, s[0:1]
	global_load_u16 v3, v1, s[0:1] offset:8 scale_offset
	s_wait_xcnt 0x0
	s_cselect_b32 s0, -1, 0
	s_delay_alu instid0(SALU_CYCLE_1)
	s_and_b32 vcc_lo, exec_lo, s0
	v_cmp_ne_u32_e64 s0, 36, v0
	s_wait_loadcnt 0x1
	v_alignbit_b32 v5, v11, v10, 16
	s_wait_loadcnt 0x0
	v_alignbit_b32 v3, v3, v11, 16
	s_delay_alu instid0(VALU_DEP_2) | instskip(NEXT) | instid1(VALU_DEP_2)
	v_dual_lshlrev_b32 v11, 1, v0 :: v_dual_lshrrev_b32 v9, 16, v5
	v_lshrrev_b32_e32 v7, 16, v3
	v_cmp_gt_f16_e64 s1, v5, v10
	s_cbranch_vccz .LBB27_4
; %bb.1:
	v_cmp_gt_f16_e32 vcc_lo, v9, v5
	v_cndmask_b32_e64 v2, 0, 1, s1
	v_mov_b32_e32 v12, 1
	ds_store_b16 v11, v10 offset:74
	s_wait_dscnt 0x0
	v_cndmask_b32_e64 v4, 0, 1, vcc_lo
	v_cmp_gt_f16_e32 vcc_lo, v7, v3
	s_barrier_signal -1
	s_barrier_wait -1
	v_cndmask_b32_e64 v8, 0, 1, vcc_lo
	v_cmp_gt_f16_e32 vcc_lo, v3, v9
	v_cndmask_b32_e64 v6, 0, 1, vcc_lo
	s_and_saveexec_b32 s1, s0
	s_cbranch_execz .LBB27_3
; %bb.2:
	ds_load_u16 v12, v11 offset:76
	s_wait_dscnt 0x0
	v_cmp_gt_f16_e32 vcc_lo, v12, v7
	v_cndmask_b32_e64 v12, 0, 1, vcc_lo
.LBB27_3:
	s_or_b32 exec_lo, exec_lo, s1
	s_cbranch_execz .LBB27_5
	s_branch .LBB27_8
.LBB27_4:
                                        ; implicit-def: $vgpr12
                                        ; implicit-def: $vgpr8
                                        ; implicit-def: $vgpr4
.LBB27_5:
	s_add_co_i32 s0, s2, 0xb9
	ds_store_b16 v11, v10 offset:74
	v_mov_b32_e32 v2, s0
	s_mov_b32 s0, exec_lo
	global_load_u16 v12, v2, s[4:5] scale_offset
	s_wait_loadcnt_dscnt 0x0
	s_barrier_signal -1
	s_barrier_wait -1
	v_cmpx_ne_u32_e32 36, v0
; %bb.6:
	ds_load_u16 v12, v11 offset:76
; %bb.7:
	s_or_b32 exec_lo, exec_lo, s0
	v_cmp_gt_f16_e32 vcc_lo, v5, v10
	v_cndmask_b32_e64 v2, 0, 1, vcc_lo
	v_cmp_gt_f16_e32 vcc_lo, v9, v5
	v_cndmask_b32_e64 v4, 0, 1, vcc_lo
	;; [unrolled: 2-line block ×4, first 2 shown]
	s_wait_dscnt 0x0
	v_cmp_lt_f16_e32 vcc_lo, v7, v12
	v_cndmask_b32_e64 v12, 0, 1, vcc_lo
.LBB27_8:
	v_dual_lshlrev_b32 v0, 3, v1 :: v_dual_ashrrev_i32 v3, 31, v2
	v_dual_ashrrev_i32 v7, 31, v6 :: v_dual_ashrrev_i32 v9, 31, v8
	s_lshl_b64 s[0:1], s[2:3], 3
	v_ashrrev_i32_e32 v5, 31, v4
	v_ashrrev_i32_e32 v13, 31, v12
	s_add_nc_u64 s[0:1], s[6:7], s[0:1]
	s_clause 0x2
	global_store_b128 v0, v[6:9], s[0:1] offset:16
	global_store_b128 v0, v[2:5], s[0:1]
	global_store_b64 v1, v[12:13], s[0:1] offset:32 scale_offset
	s_endpgm
	.section	.rodata,"a",@progbits
	.p2align	6, 0x0
	.amdhsa_kernel _Z17flag_tails_kernelI6__halfiN10test_utils7greaterELj37ELj5EEvPT_Px
		.amdhsa_group_segment_fixed_size 148
		.amdhsa_private_segment_fixed_size 0
		.amdhsa_kernarg_size 16
		.amdhsa_user_sgpr_count 2
		.amdhsa_user_sgpr_dispatch_ptr 0
		.amdhsa_user_sgpr_queue_ptr 0
		.amdhsa_user_sgpr_kernarg_segment_ptr 1
		.amdhsa_user_sgpr_dispatch_id 0
		.amdhsa_user_sgpr_kernarg_preload_length 0
		.amdhsa_user_sgpr_kernarg_preload_offset 0
		.amdhsa_user_sgpr_private_segment_size 0
		.amdhsa_wavefront_size32 1
		.amdhsa_uses_dynamic_stack 0
		.amdhsa_enable_private_segment 0
		.amdhsa_system_sgpr_workgroup_id_x 1
		.amdhsa_system_sgpr_workgroup_id_y 0
		.amdhsa_system_sgpr_workgroup_id_z 0
		.amdhsa_system_sgpr_workgroup_info 0
		.amdhsa_system_vgpr_workitem_id 0
		.amdhsa_next_free_vgpr 14
		.amdhsa_next_free_sgpr 9
		.amdhsa_named_barrier_count 0
		.amdhsa_reserve_vcc 1
		.amdhsa_float_round_mode_32 0
		.amdhsa_float_round_mode_16_64 0
		.amdhsa_float_denorm_mode_32 3
		.amdhsa_float_denorm_mode_16_64 3
		.amdhsa_fp16_overflow 0
		.amdhsa_memory_ordered 1
		.amdhsa_forward_progress 1
		.amdhsa_inst_pref_size 5
		.amdhsa_round_robin_scheduling 0
		.amdhsa_exception_fp_ieee_invalid_op 0
		.amdhsa_exception_fp_denorm_src 0
		.amdhsa_exception_fp_ieee_div_zero 0
		.amdhsa_exception_fp_ieee_overflow 0
		.amdhsa_exception_fp_ieee_underflow 0
		.amdhsa_exception_fp_ieee_inexact 0
		.amdhsa_exception_int_div_zero 0
	.end_amdhsa_kernel
	.section	.text._Z17flag_tails_kernelI6__halfiN10test_utils7greaterELj37ELj5EEvPT_Px,"axG",@progbits,_Z17flag_tails_kernelI6__halfiN10test_utils7greaterELj37ELj5EEvPT_Px,comdat
.Lfunc_end27:
	.size	_Z17flag_tails_kernelI6__halfiN10test_utils7greaterELj37ELj5EEvPT_Px, .Lfunc_end27-_Z17flag_tails_kernelI6__halfiN10test_utils7greaterELj37ELj5EEvPT_Px
                                        ; -- End function
	.set _Z17flag_tails_kernelI6__halfiN10test_utils7greaterELj37ELj5EEvPT_Px.num_vgpr, 14
	.set _Z17flag_tails_kernelI6__halfiN10test_utils7greaterELj37ELj5EEvPT_Px.num_agpr, 0
	.set _Z17flag_tails_kernelI6__halfiN10test_utils7greaterELj37ELj5EEvPT_Px.numbered_sgpr, 9
	.set _Z17flag_tails_kernelI6__halfiN10test_utils7greaterELj37ELj5EEvPT_Px.num_named_barrier, 0
	.set _Z17flag_tails_kernelI6__halfiN10test_utils7greaterELj37ELj5EEvPT_Px.private_seg_size, 0
	.set _Z17flag_tails_kernelI6__halfiN10test_utils7greaterELj37ELj5EEvPT_Px.uses_vcc, 1
	.set _Z17flag_tails_kernelI6__halfiN10test_utils7greaterELj37ELj5EEvPT_Px.uses_flat_scratch, 0
	.set _Z17flag_tails_kernelI6__halfiN10test_utils7greaterELj37ELj5EEvPT_Px.has_dyn_sized_stack, 0
	.set _Z17flag_tails_kernelI6__halfiN10test_utils7greaterELj37ELj5EEvPT_Px.has_recursion, 0
	.set _Z17flag_tails_kernelI6__halfiN10test_utils7greaterELj37ELj5EEvPT_Px.has_indirect_call, 0
	.section	.AMDGPU.csdata,"",@progbits
; Kernel info:
; codeLenInByte = 520
; TotalNumSgprs: 11
; NumVgprs: 14
; ScratchSize: 0
; MemoryBound: 0
; FloatMode: 240
; IeeeMode: 1
; LDSByteSize: 148 bytes/workgroup (compile time only)
; SGPRBlocks: 0
; VGPRBlocks: 0
; NumSGPRsForWavesPerEU: 11
; NumVGPRsForWavesPerEU: 14
; NamedBarCnt: 0
; Occupancy: 16
; WaveLimiterHint : 0
; COMPUTE_PGM_RSRC2:SCRATCH_EN: 0
; COMPUTE_PGM_RSRC2:USER_SGPR: 2
; COMPUTE_PGM_RSRC2:TRAP_HANDLER: 0
; COMPUTE_PGM_RSRC2:TGID_X_EN: 1
; COMPUTE_PGM_RSRC2:TGID_Y_EN: 0
; COMPUTE_PGM_RSRC2:TGID_Z_EN: 0
; COMPUTE_PGM_RSRC2:TIDIG_COMP_CNT: 0
	.section	.text._Z17flag_tails_kernelIdjN6hipcub8EqualityELj464ELj2EEvPT_Px,"axG",@progbits,_Z17flag_tails_kernelIdjN6hipcub8EqualityELj464ELj2EEvPT_Px,comdat
	.protected	_Z17flag_tails_kernelIdjN6hipcub8EqualityELj464ELj2EEvPT_Px ; -- Begin function _Z17flag_tails_kernelIdjN6hipcub8EqualityELj464ELj2EEvPT_Px
	.globl	_Z17flag_tails_kernelIdjN6hipcub8EqualityELj464ELj2EEvPT_Px
	.p2align	8
	.type	_Z17flag_tails_kernelIdjN6hipcub8EqualityELj464ELj2EEvPT_Px,@function
_Z17flag_tails_kernelIdjN6hipcub8EqualityELj464ELj2EEvPT_Px: ; @_Z17flag_tails_kernelIdjN6hipcub8EqualityELj464ELj2EEvPT_Px
; %bb.0:
	s_load_b128 s[4:7], s[0:1], 0x0
	s_wait_xcnt 0x0
	s_bfe_u32 s0, ttmp6, 0x4000c
	s_and_b32 s1, ttmp6, 15
	s_add_co_i32 s0, s0, 1
	s_getreg_b32 s2, hwreg(HW_REG_IB_STS2, 6, 4)
	s_mul_i32 s0, ttmp9, s0
	s_mov_b32 s9, 0
	s_add_co_i32 s1, s1, s0
	s_cmp_eq_u32 s2, 0
	v_lshlrev_b32_e32 v7, 3, v0
	s_cselect_b32 s10, ttmp9, s1
	s_delay_alu instid0(SALU_CYCLE_1) | instskip(NEXT) | instid1(SALU_CYCLE_1)
	s_mul_i32 s8, s10, 0x3a0
	s_lshl_b64 s[2:3], s[8:9], 3
	s_bitcmp1_b32 s10, 0
	s_wait_kmcnt 0x0
	s_add_nc_u64 s[0:1], s[4:5], s[2:3]
	global_load_b128 v[2:5], v0, s[0:1] scale_offset
	s_wait_xcnt 0x0
	s_cselect_b32 s1, -1, 0
	s_delay_alu instid0(SALU_CYCLE_1)
	s_and_b32 vcc_lo, exec_lo, s1
	v_cmp_ne_u32_e64 s1, 0x1cf, v0
	s_wait_loadcnt 0x0
	v_cmp_eq_f64_e64 s0, v[4:5], v[2:3]
	s_cbranch_vccz .LBB28_4
; %bb.1:
	v_mov_b32_e32 v8, 1
	ds_store_b64 v7, v[2:3] offset:3712
	s_wait_dscnt 0x0
	s_barrier_signal -1
	s_barrier_wait -1
	s_and_saveexec_b32 s9, s1
	s_cbranch_execz .LBB28_3
; %bb.2:
	ds_load_b64 v[8:9], v7 offset:3720
	s_wait_dscnt 0x0
	v_cmp_eq_f64_e32 vcc_lo, v[8:9], v[4:5]
	v_cndmask_b32_e64 v8, 0, 1, vcc_lo
.LBB28_3:
	s_or_b32 exec_lo, exec_lo, s9
	v_cndmask_b32_e64 v6, 0, 1, s0
	v_lshlrev_b32_e32 v9, 1, v0
	s_cbranch_execz .LBB28_5
	s_branch .LBB28_8
.LBB28_4:
                                        ; implicit-def: $vgpr8
	v_lshlrev_b32_e32 v9, 1, v0
.LBB28_5:
	s_add_co_i32 s0, s8, 0x3a0
	v_cmp_ne_u32_e32 vcc_lo, 0x1cf, v0
	s_load_b64 s[0:1], s[4:5], s0 offset:0x0 scale_offset
	ds_store_b64 v7, v[2:3] offset:3712
	s_wait_dscnt 0x0
	s_barrier_signal -1
	s_barrier_wait -1
	s_wait_kmcnt 0x0
	v_mov_b64_e32 v[0:1], s[0:1]
	s_and_saveexec_b32 s0, vcc_lo
; %bb.6:
	ds_load_b64 v[0:1], v7 offset:3720
; %bb.7:
	s_or_b32 exec_lo, exec_lo, s0
	v_cmp_eq_f64_e32 vcc_lo, v[4:5], v[2:3]
	v_cndmask_b32_e64 v6, 0, 1, vcc_lo
	s_wait_dscnt 0x0
	v_cmp_eq_f64_e32 vcc_lo, v[0:1], v[4:5]
	v_cndmask_b32_e64 v8, 0, 1, vcc_lo
.LBB28_8:
	s_delay_alu instid0(VALU_DEP_1) | instskip(SKIP_1) | instid1(VALU_DEP_1)
	v_dual_mov_b32 v7, 0 :: v_dual_lshlrev_b32 v0, 3, v9
	s_add_nc_u64 s[0:1], s[6:7], s[2:3]
	v_mov_b32_e32 v9, v7
	global_store_b128 v0, v[6:9], s[0:1]
	s_endpgm
	.section	.rodata,"a",@progbits
	.p2align	6, 0x0
	.amdhsa_kernel _Z17flag_tails_kernelIdjN6hipcub8EqualityELj464ELj2EEvPT_Px
		.amdhsa_group_segment_fixed_size 7424
		.amdhsa_private_segment_fixed_size 0
		.amdhsa_kernarg_size 16
		.amdhsa_user_sgpr_count 2
		.amdhsa_user_sgpr_dispatch_ptr 0
		.amdhsa_user_sgpr_queue_ptr 0
		.amdhsa_user_sgpr_kernarg_segment_ptr 1
		.amdhsa_user_sgpr_dispatch_id 0
		.amdhsa_user_sgpr_kernarg_preload_length 0
		.amdhsa_user_sgpr_kernarg_preload_offset 0
		.amdhsa_user_sgpr_private_segment_size 0
		.amdhsa_wavefront_size32 1
		.amdhsa_uses_dynamic_stack 0
		.amdhsa_enable_private_segment 0
		.amdhsa_system_sgpr_workgroup_id_x 1
		.amdhsa_system_sgpr_workgroup_id_y 0
		.amdhsa_system_sgpr_workgroup_id_z 0
		.amdhsa_system_sgpr_workgroup_info 0
		.amdhsa_system_vgpr_workitem_id 0
		.amdhsa_next_free_vgpr 10
		.amdhsa_next_free_sgpr 11
		.amdhsa_named_barrier_count 0
		.amdhsa_reserve_vcc 1
		.amdhsa_float_round_mode_32 0
		.amdhsa_float_round_mode_16_64 0
		.amdhsa_float_denorm_mode_32 3
		.amdhsa_float_denorm_mode_16_64 3
		.amdhsa_fp16_overflow 0
		.amdhsa_memory_ordered 1
		.amdhsa_forward_progress 1
		.amdhsa_inst_pref_size 3
		.amdhsa_round_robin_scheduling 0
		.amdhsa_exception_fp_ieee_invalid_op 0
		.amdhsa_exception_fp_denorm_src 0
		.amdhsa_exception_fp_ieee_div_zero 0
		.amdhsa_exception_fp_ieee_overflow 0
		.amdhsa_exception_fp_ieee_underflow 0
		.amdhsa_exception_fp_ieee_inexact 0
		.amdhsa_exception_int_div_zero 0
	.end_amdhsa_kernel
	.section	.text._Z17flag_tails_kernelIdjN6hipcub8EqualityELj464ELj2EEvPT_Px,"axG",@progbits,_Z17flag_tails_kernelIdjN6hipcub8EqualityELj464ELj2EEvPT_Px,comdat
.Lfunc_end28:
	.size	_Z17flag_tails_kernelIdjN6hipcub8EqualityELj464ELj2EEvPT_Px, .Lfunc_end28-_Z17flag_tails_kernelIdjN6hipcub8EqualityELj464ELj2EEvPT_Px
                                        ; -- End function
	.set _Z17flag_tails_kernelIdjN6hipcub8EqualityELj464ELj2EEvPT_Px.num_vgpr, 10
	.set _Z17flag_tails_kernelIdjN6hipcub8EqualityELj464ELj2EEvPT_Px.num_agpr, 0
	.set _Z17flag_tails_kernelIdjN6hipcub8EqualityELj464ELj2EEvPT_Px.numbered_sgpr, 11
	.set _Z17flag_tails_kernelIdjN6hipcub8EqualityELj464ELj2EEvPT_Px.num_named_barrier, 0
	.set _Z17flag_tails_kernelIdjN6hipcub8EqualityELj464ELj2EEvPT_Px.private_seg_size, 0
	.set _Z17flag_tails_kernelIdjN6hipcub8EqualityELj464ELj2EEvPT_Px.uses_vcc, 1
	.set _Z17flag_tails_kernelIdjN6hipcub8EqualityELj464ELj2EEvPT_Px.uses_flat_scratch, 0
	.set _Z17flag_tails_kernelIdjN6hipcub8EqualityELj464ELj2EEvPT_Px.has_dyn_sized_stack, 0
	.set _Z17flag_tails_kernelIdjN6hipcub8EqualityELj464ELj2EEvPT_Px.has_recursion, 0
	.set _Z17flag_tails_kernelIdjN6hipcub8EqualityELj464ELj2EEvPT_Px.has_indirect_call, 0
	.section	.AMDGPU.csdata,"",@progbits
; Kernel info:
; codeLenInByte = 356
; TotalNumSgprs: 13
; NumVgprs: 10
; ScratchSize: 0
; MemoryBound: 0
; FloatMode: 240
; IeeeMode: 1
; LDSByteSize: 7424 bytes/workgroup (compile time only)
; SGPRBlocks: 0
; VGPRBlocks: 0
; NumSGPRsForWavesPerEU: 13
; NumVGPRsForWavesPerEU: 10
; NamedBarCnt: 0
; Occupancy: 15
; WaveLimiterHint : 0
; COMPUTE_PGM_RSRC2:SCRATCH_EN: 0
; COMPUTE_PGM_RSRC2:USER_SGPR: 2
; COMPUTE_PGM_RSRC2:TRAP_HANDLER: 0
; COMPUTE_PGM_RSRC2:TGID_X_EN: 1
; COMPUTE_PGM_RSRC2:TGID_Y_EN: 0
; COMPUTE_PGM_RSRC2:TGID_Z_EN: 0
; COMPUTE_PGM_RSRC2:TIDIG_COMP_CNT: 0
	.section	.text._Z17flag_tails_kernelIdi15custom_flag_op2IdELj33ELj5EEvPT_Px,"axG",@progbits,_Z17flag_tails_kernelIdi15custom_flag_op2IdELj33ELj5EEvPT_Px,comdat
	.protected	_Z17flag_tails_kernelIdi15custom_flag_op2IdELj33ELj5EEvPT_Px ; -- Begin function _Z17flag_tails_kernelIdi15custom_flag_op2IdELj33ELj5EEvPT_Px
	.globl	_Z17flag_tails_kernelIdi15custom_flag_op2IdELj33ELj5EEvPT_Px
	.p2align	8
	.type	_Z17flag_tails_kernelIdi15custom_flag_op2IdELj33ELj5EEvPT_Px,@function
_Z17flag_tails_kernelIdi15custom_flag_op2IdELj33ELj5EEvPT_Px: ; @_Z17flag_tails_kernelIdi15custom_flag_op2IdELj33ELj5EEvPT_Px
; %bb.0:
	s_load_b128 s[4:7], s[0:1], 0x0
	s_wait_xcnt 0x0
	s_bfe_u32 s0, ttmp6, 0x4000c
	s_and_b32 s1, ttmp6, 15
	s_add_co_i32 s0, s0, 1
	s_getreg_b32 s2, hwreg(HW_REG_IB_STS2, 6, 4)
	s_mul_i32 s0, ttmp9, s0
	v_mul_u32_u24_e32 v24, 5, v0
	s_add_co_i32 s1, s1, s0
	s_cmp_eq_u32 s2, 0
	s_mov_b32 s11, 0
	s_cselect_b32 s2, ttmp9, s1
	v_lshlrev_b32_e32 v25, 3, v24
	s_mul_i32 s10, s2, 0xa5
	v_lshlrev_b32_e32 v15, 3, v0
	s_lshl_b64 s[8:9], s[10:11], 3
	s_bitcmp1_b32 s2, 0
	s_wait_kmcnt 0x0
	s_add_nc_u64 s[0:1], s[4:5], s[8:9]
	s_clause 0x2
	global_load_b128 v[2:5], v25, s[0:1] offset:24
	global_load_b128 v[10:13], v25, s[0:1]
	global_load_b128 v[6:9], v25, s[0:1] offset:8
	s_wait_xcnt 0x0
	s_cselect_b32 s0, -1, 0
	s_delay_alu instid0(SALU_CYCLE_1)
	s_and_b32 vcc_lo, exec_lo, s0
	v_cmp_ne_u32_e64 s0, 32, v0
	s_cbranch_vccz .LBB29_4
; %bb.1:
	s_wait_loadcnt 0x0
	v_add_f64_e64 v[18:19], v[8:9], -v[6:7]
	v_add_f64_e64 v[20:21], v[2:3], -v[8:9]
	;; [unrolled: 1-line block ×4, first 2 shown]
	ds_store_b64 v15, v[10:11] offset:264
	s_wait_dscnt 0x0
	s_barrier_signal -1
	s_barrier_wait -1
	v_cmp_lt_f64_e64 s1, 0x40140000, v[18:19]
	v_cmp_lt_f64_e64 s2, 0x40140000, v[20:21]
	;; [unrolled: 1-line block ×3, first 2 shown]
	v_mov_b32_e32 v22, 1
	v_cmp_lt_f64_e32 vcc_lo, 0x40140000, v[16:17]
	s_and_saveexec_b32 s11, s0
	s_cbranch_execz .LBB29_3
; %bb.2:
	ds_load_b64 v[16:17], v15 offset:272
	s_wait_dscnt 0x0
	v_add_f64_e64 v[16:17], v[16:17], -v[4:5]
	s_delay_alu instid0(VALU_DEP_1) | instskip(NEXT) | instid1(VALU_DEP_1)
	v_cmp_lt_f64_e64 s0, 0x40140000, v[16:17]
	v_cndmask_b32_e64 v22, 0, 1, s0
.LBB29_3:
	s_or_b32 exec_lo, exec_lo, s11
	v_cndmask_b32_e64 v14, 0, 1, vcc_lo
	v_cndmask_b32_e64 v16, 0, 1, s1
	v_cndmask_b32_e64 v18, 0, 1, s2
	;; [unrolled: 1-line block ×3, first 2 shown]
	s_cbranch_execz .LBB29_5
	s_branch .LBB29_8
.LBB29_4:
                                        ; implicit-def: $vgpr22
                                        ; implicit-def: $vgpr20
                                        ; implicit-def: $vgpr16
.LBB29_5:
	s_add_co_i32 s0, s10, 0xa5
	v_cmp_ne_u32_e32 vcc_lo, 32, v0
	s_load_b64 s[0:1], s[4:5], s0 offset:0x0 scale_offset
	s_wait_loadcnt 0x1
	ds_store_b64 v15, v[10:11] offset:264
	s_wait_loadcnt_dscnt 0x0
	s_barrier_signal -1
	s_barrier_wait -1
	s_wait_kmcnt 0x0
	v_mov_b64_e32 v[0:1], s[0:1]
	s_and_saveexec_b32 s0, vcc_lo
; %bb.6:
	ds_load_b64 v[0:1], v15 offset:272
; %bb.7:
	s_or_b32 exec_lo, exec_lo, s0
	v_add_f64_e64 v[6:7], v[6:7], -v[10:11]
	v_add_f64_e64 v[10:11], v[8:9], -v[12:13]
	;; [unrolled: 1-line block ×4, first 2 shown]
	s_wait_dscnt 0x0
	v_add_f64_e64 v[0:1], v[0:1], -v[4:5]
	v_cmp_lt_f64_e32 vcc_lo, 0x40140000, v[6:7]
	v_cndmask_b32_e64 v14, 0, 1, vcc_lo
	v_cmp_lt_f64_e32 vcc_lo, 0x40140000, v[10:11]
	v_cndmask_b32_e64 v16, 0, 1, vcc_lo
	;; [unrolled: 2-line block ×5, first 2 shown]
.LBB29_8:
	s_delay_alu instid0(VALU_DEP_1) | instskip(SKIP_1) | instid1(VALU_DEP_3)
	v_dual_ashrrev_i32 v15, 31, v14 :: v_dual_ashrrev_i32 v21, 31, v20
	v_dual_ashrrev_i32 v19, 31, v18 :: v_dual_ashrrev_i32 v17, 31, v16
	v_ashrrev_i32_e32 v23, 31, v22
	s_add_nc_u64 s[0:1], s[6:7], s[8:9]
	s_clause 0x2
	global_store_b128 v25, v[18:21], s[0:1] offset:16
	global_store_b128 v25, v[14:17], s[0:1]
	global_store_b64 v24, v[22:23], s[0:1] offset:32 scale_offset
	s_endpgm
	.section	.rodata,"a",@progbits
	.p2align	6, 0x0
	.amdhsa_kernel _Z17flag_tails_kernelIdi15custom_flag_op2IdELj33ELj5EEvPT_Px
		.amdhsa_group_segment_fixed_size 528
		.amdhsa_private_segment_fixed_size 0
		.amdhsa_kernarg_size 16
		.amdhsa_user_sgpr_count 2
		.amdhsa_user_sgpr_dispatch_ptr 0
		.amdhsa_user_sgpr_queue_ptr 0
		.amdhsa_user_sgpr_kernarg_segment_ptr 1
		.amdhsa_user_sgpr_dispatch_id 0
		.amdhsa_user_sgpr_kernarg_preload_length 0
		.amdhsa_user_sgpr_kernarg_preload_offset 0
		.amdhsa_user_sgpr_private_segment_size 0
		.amdhsa_wavefront_size32 1
		.amdhsa_uses_dynamic_stack 0
		.amdhsa_enable_private_segment 0
		.amdhsa_system_sgpr_workgroup_id_x 1
		.amdhsa_system_sgpr_workgroup_id_y 0
		.amdhsa_system_sgpr_workgroup_id_z 0
		.amdhsa_system_sgpr_workgroup_info 0
		.amdhsa_system_vgpr_workitem_id 0
		.amdhsa_next_free_vgpr 26
		.amdhsa_next_free_sgpr 12
		.amdhsa_named_barrier_count 0
		.amdhsa_reserve_vcc 1
		.amdhsa_float_round_mode_32 0
		.amdhsa_float_round_mode_16_64 0
		.amdhsa_float_denorm_mode_32 3
		.amdhsa_float_denorm_mode_16_64 3
		.amdhsa_fp16_overflow 0
		.amdhsa_memory_ordered 1
		.amdhsa_forward_progress 1
		.amdhsa_inst_pref_size 5
		.amdhsa_round_robin_scheduling 0
		.amdhsa_exception_fp_ieee_invalid_op 0
		.amdhsa_exception_fp_denorm_src 0
		.amdhsa_exception_fp_ieee_div_zero 0
		.amdhsa_exception_fp_ieee_overflow 0
		.amdhsa_exception_fp_ieee_underflow 0
		.amdhsa_exception_fp_ieee_inexact 0
		.amdhsa_exception_int_div_zero 0
	.end_amdhsa_kernel
	.section	.text._Z17flag_tails_kernelIdi15custom_flag_op2IdELj33ELj5EEvPT_Px,"axG",@progbits,_Z17flag_tails_kernelIdi15custom_flag_op2IdELj33ELj5EEvPT_Px,comdat
.Lfunc_end29:
	.size	_Z17flag_tails_kernelIdi15custom_flag_op2IdELj33ELj5EEvPT_Px, .Lfunc_end29-_Z17flag_tails_kernelIdi15custom_flag_op2IdELj33ELj5EEvPT_Px
                                        ; -- End function
	.set _Z17flag_tails_kernelIdi15custom_flag_op2IdELj33ELj5EEvPT_Px.num_vgpr, 26
	.set _Z17flag_tails_kernelIdi15custom_flag_op2IdELj33ELj5EEvPT_Px.num_agpr, 0
	.set _Z17flag_tails_kernelIdi15custom_flag_op2IdELj33ELj5EEvPT_Px.numbered_sgpr, 12
	.set _Z17flag_tails_kernelIdi15custom_flag_op2IdELj33ELj5EEvPT_Px.num_named_barrier, 0
	.set _Z17flag_tails_kernelIdi15custom_flag_op2IdELj33ELj5EEvPT_Px.private_seg_size, 0
	.set _Z17flag_tails_kernelIdi15custom_flag_op2IdELj33ELj5EEvPT_Px.uses_vcc, 1
	.set _Z17flag_tails_kernelIdi15custom_flag_op2IdELj33ELj5EEvPT_Px.uses_flat_scratch, 0
	.set _Z17flag_tails_kernelIdi15custom_flag_op2IdELj33ELj5EEvPT_Px.has_dyn_sized_stack, 0
	.set _Z17flag_tails_kernelIdi15custom_flag_op2IdELj33ELj5EEvPT_Px.has_recursion, 0
	.set _Z17flag_tails_kernelIdi15custom_flag_op2IdELj33ELj5EEvPT_Px.has_indirect_call, 0
	.section	.AMDGPU.csdata,"",@progbits
; Kernel info:
; codeLenInByte = 628
; TotalNumSgprs: 14
; NumVgprs: 26
; ScratchSize: 0
; MemoryBound: 0
; FloatMode: 240
; IeeeMode: 1
; LDSByteSize: 528 bytes/workgroup (compile time only)
; SGPRBlocks: 0
; VGPRBlocks: 1
; NumSGPRsForWavesPerEU: 14
; NumVGPRsForWavesPerEU: 26
; NamedBarCnt: 0
; Occupancy: 16
; WaveLimiterHint : 0
; COMPUTE_PGM_RSRC2:SCRATCH_EN: 0
; COMPUTE_PGM_RSRC2:USER_SGPR: 2
; COMPUTE_PGM_RSRC2:TRAP_HANDLER: 0
; COMPUTE_PGM_RSRC2:TGID_X_EN: 1
; COMPUTE_PGM_RSRC2:TGID_Y_EN: 0
; COMPUTE_PGM_RSRC2:TGID_Z_EN: 0
; COMPUTE_PGM_RSRC2:TIDIG_COMP_CNT: 0
	.section	.text._Z17flag_tails_kernelIssN6hipcub8EqualityELj512ELj8EEvPT_Px,"axG",@progbits,_Z17flag_tails_kernelIssN6hipcub8EqualityELj512ELj8EEvPT_Px,comdat
	.protected	_Z17flag_tails_kernelIssN6hipcub8EqualityELj512ELj8EEvPT_Px ; -- Begin function _Z17flag_tails_kernelIssN6hipcub8EqualityELj512ELj8EEvPT_Px
	.globl	_Z17flag_tails_kernelIssN6hipcub8EqualityELj512ELj8EEvPT_Px
	.p2align	8
	.type	_Z17flag_tails_kernelIssN6hipcub8EqualityELj512ELj8EEvPT_Px,@function
_Z17flag_tails_kernelIssN6hipcub8EqualityELj512ELj8EEvPT_Px: ; @_Z17flag_tails_kernelIssN6hipcub8EqualityELj512ELj8EEvPT_Px
; %bb.0:
	s_load_b128 s[0:3], s[0:1], 0x0
	s_bfe_u32 s4, ttmp6, 0x4000c
	s_and_b32 s5, ttmp6, 15
	s_add_co_i32 s4, s4, 1
	s_getreg_b32 s6, hwreg(HW_REG_IB_STS2, 6, 4)
	s_mul_i32 s4, ttmp9, s4
	v_dual_lshlrev_b32 v6, 4, v0 :: v_dual_lshlrev_b32 v11, 1, v0
	s_add_co_i32 s5, s5, s4
	s_cmp_eq_u32 s6, 0
	s_cselect_b32 s8, ttmp9, s5
	s_mov_b32 s5, 0
	s_lshl_b32 s4, s8, 12
	s_delay_alu instid0(SALU_CYCLE_1)
	s_lshl_b64 s[6:7], s[4:5], 1
	s_bitcmp1_b32 s8, 0
	s_wait_kmcnt 0x0
	s_add_nc_u64 s[6:7], s[0:1], s[6:7]
	s_cselect_b32 s0, -1, 0
	s_clause 0x3
	global_load_b32 v5, v6, s[6:7]
	global_load_u16 v1, v6, s[6:7] offset:14
	global_load_b64 v[2:3], v6, s[6:7] offset:2
	global_load_b32 v4, v6, s[6:7] offset:10
	s_and_b32 vcc_lo, exec_lo, s0
	v_cmp_ne_u32_e64 s0, 0x1ff, v0
	s_wait_loadcnt 0x1
	v_cmp_eq_u16_e64 s1, v2, v5
	v_dual_lshrrev_b32 v8, 16, v2 :: v_dual_lshrrev_b32 v7, 16, v3
	s_wait_loadcnt 0x0
	v_lshrrev_b32_e32 v6, 16, v4
	s_cbranch_vccz .LBB30_4
; %bb.1:
	s_delay_alu instid0(VALU_DEP_2)
	v_cmp_eq_u16_e32 vcc_lo, v3, v8
	v_cndmask_b32_e64 v9, 0, 1, s1
	ds_store_b16 v11, v5 offset:1024
	s_wait_dscnt 0x0
	s_barrier_signal -1
	v_cndmask_b32_e64 v10, 0, 1, vcc_lo
	v_cmp_eq_u16_e32 vcc_lo, v8, v2
	s_barrier_wait -1
	v_cndmask_b32_e64 v12, 0, 1, vcc_lo
	v_cmp_eq_u16_e32 vcc_lo, v4, v7
	s_delay_alu instid0(VALU_DEP_2) | instskip(SKIP_4) | instid1(VALU_DEP_2)
	v_perm_b32 v13, v12, v9, 0x5040100
	v_cndmask_b32_e64 v14, 0, 1, vcc_lo
	v_cmp_eq_u16_e32 vcc_lo, v7, v3
	v_cndmask_b32_e64 v15, 0, 1, vcc_lo
	v_cmp_eq_u16_e32 vcc_lo, v4, v6
	v_perm_b32 v12, v15, v10, 0x5040100
	v_cndmask_b32_e64 v16, 0, 1, vcc_lo
	v_cmp_eq_u16_e32 vcc_lo, v1, v6
	s_delay_alu instid0(VALU_DEP_2) | instskip(SKIP_1) | instid1(VALU_DEP_1)
	v_perm_b32 v10, v16, v14, 0x5040100
	v_cndmask_b32_e64 v17, 0, 1, vcc_lo
	v_perm_b32 v9, 1, v17, 0x5040100
	s_and_saveexec_b32 s1, s0
	s_cbranch_execz .LBB30_3
; %bb.2:
	ds_load_u16 v14, v11 offset:1026
	s_wait_dscnt 0x0
	v_cmp_eq_u16_e32 vcc_lo, v14, v1
	v_cndmask_b32_e64 v14, 0, 1, vcc_lo
	s_delay_alu instid0(VALU_DEP_1)
	v_perm_b32 v9, v14, v9, 0x5040100
.LBB30_3:
	s_or_b32 exec_lo, exec_lo, s1
	v_lshlrev_b32_e32 v14, 3, v0
	s_cbranch_execz .LBB30_5
	s_branch .LBB30_8
.LBB30_4:
                                        ; implicit-def: $vgpr9
                                        ; implicit-def: $vgpr10
                                        ; implicit-def: $vgpr12
                                        ; implicit-def: $vgpr13
	v_lshlrev_b32_e32 v14, 3, v0
.LBB30_5:
	v_mov_b32_e32 v9, 0
	s_mov_b32 s0, exec_lo
	ds_store_b16 v11, v5 offset:1024
	global_load_u16 v9, v9, s[6:7] offset:8192
	s_wait_loadcnt_dscnt 0x0
	s_barrier_signal -1
	s_barrier_wait -1
	v_cmpx_ne_u32_e32 0x1ff, v0
; %bb.6:
	ds_load_u16 v9, v11 offset:1026
; %bb.7:
	s_or_b32 exec_lo, exec_lo, s0
	v_lshrrev_b32_e32 v0, 16, v5
	v_cmp_eq_u16_e32 vcc_lo, v2, v5
	v_cndmask_b32_e64 v2, 0, 1, vcc_lo
	s_delay_alu instid0(VALU_DEP_3) | instskip(SKIP_2) | instid1(VALU_DEP_2)
	v_cmp_eq_u16_e32 vcc_lo, v8, v0
	v_cndmask_b32_e64 v0, 0, 1, vcc_lo
	v_cmp_eq_u16_e32 vcc_lo, v3, v8
	v_perm_b32 v13, v0, v2, 0x5040100
	v_cndmask_b32_e64 v5, 0, 1, vcc_lo
	v_cmp_eq_u16_e32 vcc_lo, v7, v3
	v_cndmask_b32_e64 v3, 0, 1, vcc_lo
	v_cmp_eq_u16_e32 vcc_lo, v4, v7
	s_delay_alu instid0(VALU_DEP_2) | instskip(SKIP_4) | instid1(VALU_DEP_2)
	v_perm_b32 v12, v3, v5, 0x5040100
	v_cndmask_b32_e64 v7, 0, 1, vcc_lo
	v_cmp_eq_u16_e32 vcc_lo, v6, v4
	v_cndmask_b32_e64 v4, 0, 1, vcc_lo
	v_cmp_eq_u16_e32 vcc_lo, v1, v6
	v_perm_b32 v10, v4, v7, 0x5040100
	v_cndmask_b32_e64 v6, 0, 1, vcc_lo
	s_wait_dscnt 0x0
	v_cmp_eq_u16_e32 vcc_lo, v9, v1
	v_cndmask_b32_e64 v1, 0, 1, vcc_lo
	s_delay_alu instid0(VALU_DEP_1)
	v_perm_b32 v9, v1, v6, 0x5040100
.LBB30_8:
	v_bfe_i32 v4, v12, 0, 16
	s_delay_alu instid0(VALU_DEP_2) | instskip(SKIP_1) | instid1(VALU_DEP_3)
	v_dual_lshrrev_b32 v1, 16, v13 :: v_dual_lshlrev_b32 v16, 3, v14
	v_dual_lshrrev_b32 v6, 16, v12 :: v_dual_lshrrev_b32 v7, 16, v10
	v_dual_ashrrev_i32 v5, 31, v4 :: v_dual_lshrrev_b32 v11, 16, v9
	v_bfe_i32 v0, v13, 0, 16
	s_delay_alu instid0(VALU_DEP_4) | instskip(NEXT) | instid1(VALU_DEP_4)
	v_bfe_i32 v2, v1, 0, 16
	v_bfe_i32 v6, v6, 0, 16
	;; [unrolled: 1-line block ×6, first 2 shown]
	v_dual_ashrrev_i32 v1, 31, v0 :: v_dual_ashrrev_i32 v3, 31, v2
	s_lshl_b64 s[0:1], s[4:5], 3
	v_dual_ashrrev_i32 v7, 31, v6 :: v_dual_ashrrev_i32 v9, 31, v8
	v_dual_ashrrev_i32 v11, 31, v10 :: v_dual_ashrrev_i32 v13, 31, v12
	s_add_nc_u64 s[0:1], s[2:3], s[0:1]
	v_ashrrev_i32_e32 v15, 31, v14
	s_clause 0x3
	global_store_b128 v16, v[0:3], s[0:1]
	global_store_b128 v16, v[4:7], s[0:1] offset:16
	global_store_b128 v16, v[8:11], s[0:1] offset:32
	;; [unrolled: 1-line block ×3, first 2 shown]
	s_endpgm
	.section	.rodata,"a",@progbits
	.p2align	6, 0x0
	.amdhsa_kernel _Z17flag_tails_kernelIssN6hipcub8EqualityELj512ELj8EEvPT_Px
		.amdhsa_group_segment_fixed_size 2048
		.amdhsa_private_segment_fixed_size 0
		.amdhsa_kernarg_size 16
		.amdhsa_user_sgpr_count 2
		.amdhsa_user_sgpr_dispatch_ptr 0
		.amdhsa_user_sgpr_queue_ptr 0
		.amdhsa_user_sgpr_kernarg_segment_ptr 1
		.amdhsa_user_sgpr_dispatch_id 0
		.amdhsa_user_sgpr_kernarg_preload_length 0
		.amdhsa_user_sgpr_kernarg_preload_offset 0
		.amdhsa_user_sgpr_private_segment_size 0
		.amdhsa_wavefront_size32 1
		.amdhsa_uses_dynamic_stack 0
		.amdhsa_enable_private_segment 0
		.amdhsa_system_sgpr_workgroup_id_x 1
		.amdhsa_system_sgpr_workgroup_id_y 0
		.amdhsa_system_sgpr_workgroup_id_z 0
		.amdhsa_system_sgpr_workgroup_info 0
		.amdhsa_system_vgpr_workitem_id 0
		.amdhsa_next_free_vgpr 18
		.amdhsa_next_free_sgpr 9
		.amdhsa_named_barrier_count 0
		.amdhsa_reserve_vcc 1
		.amdhsa_float_round_mode_32 0
		.amdhsa_float_round_mode_16_64 0
		.amdhsa_float_denorm_mode_32 3
		.amdhsa_float_denorm_mode_16_64 3
		.amdhsa_fp16_overflow 0
		.amdhsa_memory_ordered 1
		.amdhsa_forward_progress 1
		.amdhsa_inst_pref_size 7
		.amdhsa_round_robin_scheduling 0
		.amdhsa_exception_fp_ieee_invalid_op 0
		.amdhsa_exception_fp_denorm_src 0
		.amdhsa_exception_fp_ieee_div_zero 0
		.amdhsa_exception_fp_ieee_overflow 0
		.amdhsa_exception_fp_ieee_underflow 0
		.amdhsa_exception_fp_ieee_inexact 0
		.amdhsa_exception_int_div_zero 0
	.end_amdhsa_kernel
	.section	.text._Z17flag_tails_kernelIssN6hipcub8EqualityELj512ELj8EEvPT_Px,"axG",@progbits,_Z17flag_tails_kernelIssN6hipcub8EqualityELj512ELj8EEvPT_Px,comdat
.Lfunc_end30:
	.size	_Z17flag_tails_kernelIssN6hipcub8EqualityELj512ELj8EEvPT_Px, .Lfunc_end30-_Z17flag_tails_kernelIssN6hipcub8EqualityELj512ELj8EEvPT_Px
                                        ; -- End function
	.set _Z17flag_tails_kernelIssN6hipcub8EqualityELj512ELj8EEvPT_Px.num_vgpr, 18
	.set _Z17flag_tails_kernelIssN6hipcub8EqualityELj512ELj8EEvPT_Px.num_agpr, 0
	.set _Z17flag_tails_kernelIssN6hipcub8EqualityELj512ELj8EEvPT_Px.numbered_sgpr, 9
	.set _Z17flag_tails_kernelIssN6hipcub8EqualityELj512ELj8EEvPT_Px.num_named_barrier, 0
	.set _Z17flag_tails_kernelIssN6hipcub8EqualityELj512ELj8EEvPT_Px.private_seg_size, 0
	.set _Z17flag_tails_kernelIssN6hipcub8EqualityELj512ELj8EEvPT_Px.uses_vcc, 1
	.set _Z17flag_tails_kernelIssN6hipcub8EqualityELj512ELj8EEvPT_Px.uses_flat_scratch, 0
	.set _Z17flag_tails_kernelIssN6hipcub8EqualityELj512ELj8EEvPT_Px.has_dyn_sized_stack, 0
	.set _Z17flag_tails_kernelIssN6hipcub8EqualityELj512ELj8EEvPT_Px.has_recursion, 0
	.set _Z17flag_tails_kernelIssN6hipcub8EqualityELj512ELj8EEvPT_Px.has_indirect_call, 0
	.section	.AMDGPU.csdata,"",@progbits
; Kernel info:
; codeLenInByte = 856
; TotalNumSgprs: 11
; NumVgprs: 18
; ScratchSize: 0
; MemoryBound: 0
; FloatMode: 240
; IeeeMode: 1
; LDSByteSize: 2048 bytes/workgroup (compile time only)
; SGPRBlocks: 0
; VGPRBlocks: 1
; NumSGPRsForWavesPerEU: 11
; NumVGPRsForWavesPerEU: 18
; NamedBarCnt: 0
; Occupancy: 16
; WaveLimiterHint : 0
; COMPUTE_PGM_RSRC2:SCRATCH_EN: 0
; COMPUTE_PGM_RSRC2:USER_SGPR: 2
; COMPUTE_PGM_RSRC2:TRAP_HANDLER: 0
; COMPUTE_PGM_RSRC2:TGID_X_EN: 1
; COMPUTE_PGM_RSRC2:TGID_Y_EN: 0
; COMPUTE_PGM_RSRC2:TGID_Z_EN: 0
; COMPUTE_PGM_RSRC2:TIDIG_COMP_CNT: 0
	.section	.text._Z17flag_tails_kernelIth15custom_flag_op2ItELj256ELj7EEvPT_Px,"axG",@progbits,_Z17flag_tails_kernelIth15custom_flag_op2ItELj256ELj7EEvPT_Px,comdat
	.protected	_Z17flag_tails_kernelIth15custom_flag_op2ItELj256ELj7EEvPT_Px ; -- Begin function _Z17flag_tails_kernelIth15custom_flag_op2ItELj256ELj7EEvPT_Px
	.globl	_Z17flag_tails_kernelIth15custom_flag_op2ItELj256ELj7EEvPT_Px
	.p2align	8
	.type	_Z17flag_tails_kernelIth15custom_flag_op2ItELj256ELj7EEvPT_Px,@function
_Z17flag_tails_kernelIth15custom_flag_op2ItELj256ELj7EEvPT_Px: ; @_Z17flag_tails_kernelIth15custom_flag_op2ItELj256ELj7EEvPT_Px
; %bb.0:
	s_load_b128 s[4:7], s[0:1], 0x0
	s_wait_xcnt 0x0
	s_bfe_u32 s0, ttmp6, 0x4000c
	s_and_b32 s1, ttmp6, 15
	s_add_co_i32 s0, s0, 1
	s_getreg_b32 s2, hwreg(HW_REG_IB_STS2, 6, 4)
	s_mul_i32 s0, ttmp9, s0
	v_mul_u32_u24_e32 v1, 7, v0
	s_add_co_i32 s1, s1, s0
	s_cmp_eq_u32 s2, 0
	s_mov_b32 s3, 0
	s_cselect_b32 s8, ttmp9, s1
	v_dual_lshlrev_b32 v4, 1, v1 :: v_dual_lshlrev_b32 v11, 1, v0
	s_mul_i32 s2, s8, 0x700
	s_delay_alu instid0(SALU_CYCLE_1)
	s_lshl_b64 s[0:1], s[2:3], 1
	s_bitcmp1_b32 s8, 0
	s_wait_kmcnt 0x0
	s_add_nc_u64 s[0:1], s[4:5], s[0:1]
	s_clause 0x1
	global_load_b96 v[12:14], v4, s[0:1] offset:2
	global_load_b64 v[2:3], v4, s[0:1]
	s_wait_xcnt 0x0
	s_cselect_b32 s0, -1, 0
	s_delay_alu instid0(SALU_CYCLE_1)
	s_and_b32 vcc_lo, exec_lo, s0
	v_cmp_ne_u32_e64 s0, 0xff, v0
	s_wait_loadcnt 0x1
	v_dual_lshrrev_b32 v4, 16, v14 :: v_dual_lshrrev_b32 v10, 16, v12
	s_wait_loadcnt 0x0
	v_and_b32_e32 v8, 0xffff, v2
	v_and_b32_e32 v9, 0xffff, v12
	;; [unrolled: 1-line block ×3, first 2 shown]
	v_lshrrev_b32_e32 v6, 16, v13
	v_and_b32_e32 v7, 0xffff, v14
	s_cbranch_vccz .LBB31_4
; %bb.1:
	v_dual_sub_nc_u32 v12, v10, v9 :: v_dual_sub_nc_u32 v14, v9, v8
	s_delay_alu instid0(VALU_DEP_3)
	v_dual_sub_nc_u32 v13, v6, v5 :: v_dual_sub_nc_u32 v15, v5, v10
	ds_store_b16 v11, v2 offset:512
	v_cmp_lt_i32_e32 vcc_lo, 5, v12
	s_wait_dscnt 0x0
	s_barrier_signal -1
	s_barrier_wait -1
	v_cndmask_b32_e64 v12, 0, 1, vcc_lo
	v_cmp_lt_i32_e32 vcc_lo, 5, v13
	v_sub_nc_u32_e32 v18, v7, v6
	s_delay_alu instid0(VALU_DEP_3) | instskip(SKIP_2) | instid1(VALU_DEP_3)
	v_lshlrev_b16 v12, 8, v12
	v_cndmask_b32_e64 v13, 0, 1, vcc_lo
	v_cmp_lt_i32_e32 vcc_lo, 5, v14
	v_dual_sub_nc_u32 v16, v4, v7 :: v_dual_lshrrev_b32 v12, 8, v12
	s_delay_alu instid0(VALU_DEP_3) | instskip(SKIP_2) | instid1(VALU_DEP_4)
	v_lshlrev_b16 v13, 8, v13
	v_cndmask_b32_e64 v14, 0, 1, vcc_lo
	v_cmp_lt_i32_e32 vcc_lo, 5, v15
	v_lshlrev_b16 v17, 8, v12
	s_delay_alu instid0(VALU_DEP_4) | instskip(SKIP_2) | instid1(VALU_DEP_4)
	v_lshrrev_b32_e32 v13, 8, v13
	v_cndmask_b32_e64 v15, 0, 1, vcc_lo
	v_cmp_lt_i32_e32 vcc_lo, 5, v16
	v_or_b32_e32 v14, v14, v17
	s_delay_alu instid0(VALU_DEP_4) | instskip(SKIP_2) | instid1(VALU_DEP_3)
	v_lshlrev_b16 v13, 8, v13
	v_cndmask_b32_e64 v12, 0, 1, vcc_lo
	v_cmp_lt_i32_e32 vcc_lo, 5, v18
	v_or_b32_e32 v13, v15, v13
	s_delay_alu instid0(VALU_DEP_3) | instskip(SKIP_1) | instid1(VALU_DEP_1)
	v_lshlrev_b16 v16, 8, v12
	v_cndmask_b32_e64 v15, 0, 1, vcc_lo
	v_dual_lshlrev_b32 v17, 16, v13 :: v_dual_bitop2_b32 v13, v15, v16 bitop3:0x54
	v_mov_b32_e32 v15, 1
	v_and_b32_e32 v14, 0xffff, v14
	s_delay_alu instid0(VALU_DEP_1)
	v_or_b32_e32 v14, v14, v17
	s_and_saveexec_b32 s1, s0
	s_cbranch_execz .LBB31_3
; %bb.2:
	ds_load_u16 v12, v11 offset:514
	v_lshrrev_b32_e32 v15, 8, v16
	v_perm_b32 v14, v14, v14, 0x3020104
	s_delay_alu instid0(VALU_DEP_2) | instskip(NEXT) | instid1(VALU_DEP_1)
	v_lshlrev_b16 v15, 8, v15
	v_bitop3_b16 v13, v13, v15, 1 bitop3:0xec
	v_and_b32_e32 v15, 0xffff, v4
	s_delay_alu instid0(VALU_DEP_2) | instskip(SKIP_1) | instid1(VALU_DEP_2)
	v_and_b32_e32 v13, 0xffff, v13
	s_wait_dscnt 0x0
	v_sub_nc_u32_e32 v12, v12, v15
	s_delay_alu instid0(VALU_DEP_2) | instskip(NEXT) | instid1(VALU_DEP_2)
	v_or_b32_e32 v13, 0x10000, v13
	v_cmp_lt_i32_e32 vcc_lo, 5, v12
	s_delay_alu instid0(VALU_DEP_2)
	v_lshrrev_b32_e32 v12, 8, v13
	v_cndmask_b32_e64 v15, 0, 1, vcc_lo
.LBB31_3:
	s_or_b32 exec_lo, exec_lo, s1
	s_cbranch_execz .LBB31_5
	s_branch .LBB31_8
.LBB31_4:
                                        ; implicit-def: $vgpr15
                                        ; implicit-def: $vgpr12
                                        ; implicit-def: $vgpr13
                                        ; implicit-def: $vgpr14
.LBB31_5:
	s_add_co_i32 s0, s2, 0x700
	ds_store_b16 v11, v2 offset:512
	v_mov_b32_e32 v12, s0
	s_mov_b32 s0, exec_lo
	global_load_u16 v12, v12, s[4:5] scale_offset
	s_wait_loadcnt_dscnt 0x0
	s_barrier_signal -1
	s_barrier_wait -1
	v_cmpx_ne_u32_e32 0xff, v0
; %bb.6:
	ds_load_u16 v12, v11 offset:514
; %bb.7:
	s_or_b32 exec_lo, exec_lo, s0
	v_lshrrev_b32_e32 v0, 16, v2
	v_and_b32_e32 v2, 0xffff, v3
	v_dual_lshrrev_b32 v3, 16, v3 :: v_dual_sub_nc_u32 v8, v9, v8
	v_and_b32_e32 v9, 0xffff, v4
	s_delay_alu instid0(VALU_DEP_4) | instskip(NEXT) | instid1(VALU_DEP_3)
	v_dual_sub_nc_u32 v0, v10, v0 :: v_dual_sub_nc_u32 v4, v4, v7
	v_sub_nc_u32_e32 v3, v6, v3
	s_delay_alu instid0(VALU_DEP_2) | instskip(SKIP_1) | instid1(VALU_DEP_3)
	v_cmp_lt_i32_e32 vcc_lo, 5, v0
	v_cndmask_b32_e64 v0, 0, 1, vcc_lo
	v_cmp_lt_i32_e32 vcc_lo, 5, v3
	s_delay_alu instid0(VALU_DEP_2)
	v_lshlrev_b16 v0, 8, v0
	v_sub_nc_u32_e32 v6, v7, v6
	v_cndmask_b32_e64 v3, 0, 1, vcc_lo
	v_cmp_lt_i32_e32 vcc_lo, 5, v8
	s_wait_dscnt 0x0
	v_and_b32_e32 v7, 0xffff, v12
	v_lshrrev_b32_e32 v0, 8, v0
	v_lshlrev_b16 v3, 8, v3
	s_delay_alu instid0(VALU_DEP_2) | instskip(SKIP_2) | instid1(VALU_DEP_1)
	v_lshlrev_b16 v0, 8, v0
	v_sub_nc_u32_e32 v2, v5, v2
	v_cndmask_b32_e64 v5, 0, 1, vcc_lo
	v_or_b32_e32 v0, v5, v0
	s_delay_alu instid0(VALU_DEP_3) | instskip(SKIP_1) | instid1(VALU_DEP_3)
	v_cmp_lt_i32_e32 vcc_lo, 5, v2
	v_sub_nc_u32_e32 v5, v7, v9
	v_and_b32_e32 v0, 0xffff, v0
	v_cndmask_b32_e64 v2, 0, 1, vcc_lo
	v_cmp_lt_i32_e32 vcc_lo, 5, v4
	s_delay_alu instid0(VALU_DEP_2) | instskip(SKIP_2) | instid1(VALU_DEP_2)
	v_or_b32_e32 v2, v2, v3
	v_cndmask_b32_e64 v12, 0, 1, vcc_lo
	v_cmp_lt_i32_e32 vcc_lo, 5, v6
	v_lshlrev_b16 v4, 8, v12
	v_cndmask_b32_e64 v3, 0, 1, vcc_lo
	v_lshlrev_b32_e32 v2, 16, v2
	v_cmp_lt_i32_e32 vcc_lo, 5, v5
	s_delay_alu instid0(VALU_DEP_3) | instskip(NEXT) | instid1(VALU_DEP_3)
	v_or_b32_e32 v13, v3, v4
	v_or_b32_e32 v14, v0, v2
	v_cndmask_b32_e64 v15, 0, 1, vcc_lo
.LBB31_8:
	v_dual_mov_b32 v3, 0 :: v_dual_lshlrev_b32 v0, 3, v1
	s_delay_alu instid0(VALU_DEP_3) | instskip(SKIP_2) | instid1(VALU_DEP_3)
	v_and_b32_e32 v2, 0xff, v14
	v_bfe_u32 v4, v14, 8, 8
	s_lshl_b64 s[0:1], s[2:3], 3
	v_mov_b32_e32 v5, v3
	s_add_nc_u64 s[0:1], s[6:7], s[0:1]
	global_store_b128 v0, v[2:5], s[0:1]
	s_wait_xcnt 0x0
	v_lshrrev_b32_e32 v4, 24, v14
	v_bfe_u32 v2, v14, 16, 8
	global_store_b128 v0, v[2:5], s[0:1] offset:16
	s_wait_xcnt 0x0
	v_and_b32_e32 v2, 0xff, v13
	v_and_b32_e32 v4, 0xff, v12
	global_store_b128 v0, v[2:5], s[0:1] offset:32
	s_wait_xcnt 0x0
	v_and_b32_e32 v2, 0xff, v15
	global_store_b64 v1, v[2:3], s[0:1] offset:48 scale_offset
	s_endpgm
	.section	.rodata,"a",@progbits
	.p2align	6, 0x0
	.amdhsa_kernel _Z17flag_tails_kernelIth15custom_flag_op2ItELj256ELj7EEvPT_Px
		.amdhsa_group_segment_fixed_size 1024
		.amdhsa_private_segment_fixed_size 0
		.amdhsa_kernarg_size 16
		.amdhsa_user_sgpr_count 2
		.amdhsa_user_sgpr_dispatch_ptr 0
		.amdhsa_user_sgpr_queue_ptr 0
		.amdhsa_user_sgpr_kernarg_segment_ptr 1
		.amdhsa_user_sgpr_dispatch_id 0
		.amdhsa_user_sgpr_kernarg_preload_length 0
		.amdhsa_user_sgpr_kernarg_preload_offset 0
		.amdhsa_user_sgpr_private_segment_size 0
		.amdhsa_wavefront_size32 1
		.amdhsa_uses_dynamic_stack 0
		.amdhsa_enable_private_segment 0
		.amdhsa_system_sgpr_workgroup_id_x 1
		.amdhsa_system_sgpr_workgroup_id_y 0
		.amdhsa_system_sgpr_workgroup_id_z 0
		.amdhsa_system_sgpr_workgroup_info 0
		.amdhsa_system_vgpr_workitem_id 0
		.amdhsa_next_free_vgpr 19
		.amdhsa_next_free_sgpr 9
		.amdhsa_named_barrier_count 0
		.amdhsa_reserve_vcc 1
		.amdhsa_float_round_mode_32 0
		.amdhsa_float_round_mode_16_64 0
		.amdhsa_float_denorm_mode_32 3
		.amdhsa_float_denorm_mode_16_64 3
		.amdhsa_fp16_overflow 0
		.amdhsa_memory_ordered 1
		.amdhsa_forward_progress 1
		.amdhsa_inst_pref_size 9
		.amdhsa_round_robin_scheduling 0
		.amdhsa_exception_fp_ieee_invalid_op 0
		.amdhsa_exception_fp_denorm_src 0
		.amdhsa_exception_fp_ieee_div_zero 0
		.amdhsa_exception_fp_ieee_overflow 0
		.amdhsa_exception_fp_ieee_underflow 0
		.amdhsa_exception_fp_ieee_inexact 0
		.amdhsa_exception_int_div_zero 0
	.end_amdhsa_kernel
	.section	.text._Z17flag_tails_kernelIth15custom_flag_op2ItELj256ELj7EEvPT_Px,"axG",@progbits,_Z17flag_tails_kernelIth15custom_flag_op2ItELj256ELj7EEvPT_Px,comdat
.Lfunc_end31:
	.size	_Z17flag_tails_kernelIth15custom_flag_op2ItELj256ELj7EEvPT_Px, .Lfunc_end31-_Z17flag_tails_kernelIth15custom_flag_op2ItELj256ELj7EEvPT_Px
                                        ; -- End function
	.set _Z17flag_tails_kernelIth15custom_flag_op2ItELj256ELj7EEvPT_Px.num_vgpr, 19
	.set _Z17flag_tails_kernelIth15custom_flag_op2ItELj256ELj7EEvPT_Px.num_agpr, 0
	.set _Z17flag_tails_kernelIth15custom_flag_op2ItELj256ELj7EEvPT_Px.numbered_sgpr, 9
	.set _Z17flag_tails_kernelIth15custom_flag_op2ItELj256ELj7EEvPT_Px.num_named_barrier, 0
	.set _Z17flag_tails_kernelIth15custom_flag_op2ItELj256ELj7EEvPT_Px.private_seg_size, 0
	.set _Z17flag_tails_kernelIth15custom_flag_op2ItELj256ELj7EEvPT_Px.uses_vcc, 1
	.set _Z17flag_tails_kernelIth15custom_flag_op2ItELj256ELj7EEvPT_Px.uses_flat_scratch, 0
	.set _Z17flag_tails_kernelIth15custom_flag_op2ItELj256ELj7EEvPT_Px.has_dyn_sized_stack, 0
	.set _Z17flag_tails_kernelIth15custom_flag_op2ItELj256ELj7EEvPT_Px.has_recursion, 0
	.set _Z17flag_tails_kernelIth15custom_flag_op2ItELj256ELj7EEvPT_Px.has_indirect_call, 0
	.section	.AMDGPU.csdata,"",@progbits
; Kernel info:
; codeLenInByte = 1032
; TotalNumSgprs: 11
; NumVgprs: 19
; ScratchSize: 0
; MemoryBound: 0
; FloatMode: 240
; IeeeMode: 1
; LDSByteSize: 1024 bytes/workgroup (compile time only)
; SGPRBlocks: 0
; VGPRBlocks: 1
; NumSGPRsForWavesPerEU: 11
; NumVGPRsForWavesPerEU: 19
; NamedBarCnt: 0
; Occupancy: 16
; WaveLimiterHint : 0
; COMPUTE_PGM_RSRC2:SCRATCH_EN: 0
; COMPUTE_PGM_RSRC2:USER_SGPR: 2
; COMPUTE_PGM_RSRC2:TRAP_HANDLER: 0
; COMPUTE_PGM_RSRC2:TGID_X_EN: 1
; COMPUTE_PGM_RSRC2:TGID_Y_EN: 0
; COMPUTE_PGM_RSRC2:TGID_Z_EN: 0
; COMPUTE_PGM_RSRC2:TIDIG_COMP_CNT: 0
	.section	.text._Z17flag_tails_kernelIisN10test_utils4lessELj128ELj4EEvPT_Px,"axG",@progbits,_Z17flag_tails_kernelIisN10test_utils4lessELj128ELj4EEvPT_Px,comdat
	.protected	_Z17flag_tails_kernelIisN10test_utils4lessELj128ELj4EEvPT_Px ; -- Begin function _Z17flag_tails_kernelIisN10test_utils4lessELj128ELj4EEvPT_Px
	.globl	_Z17flag_tails_kernelIisN10test_utils4lessELj128ELj4EEvPT_Px
	.p2align	8
	.type	_Z17flag_tails_kernelIisN10test_utils4lessELj128ELj4EEvPT_Px,@function
_Z17flag_tails_kernelIisN10test_utils4lessELj128ELj4EEvPT_Px: ; @_Z17flag_tails_kernelIisN10test_utils4lessELj128ELj4EEvPT_Px
; %bb.0:
	s_load_b128 s[4:7], s[0:1], 0x0
	s_wait_xcnt 0x0
	s_bfe_u32 s0, ttmp6, 0x4000c
	s_and_b32 s1, ttmp6, 15
	s_add_co_i32 s0, s0, 1
	s_getreg_b32 s2, hwreg(HW_REG_IB_STS2, 6, 4)
	s_mul_i32 s0, ttmp9, s0
	s_mov_b32 s9, 0
	s_add_co_i32 s1, s1, s0
	s_cmp_eq_u32 s2, 0
	v_lshlrev_b32_e32 v1, 4, v0
	s_cselect_b32 s2, ttmp9, s1
	s_delay_alu instid0(SALU_CYCLE_1) | instskip(NEXT) | instid1(SALU_CYCLE_1)
	s_lshl_b32 s8, s2, 9
	s_lshl_b64 s[0:1], s[8:9], 2
	s_bitcmp1_b32 s2, 0
	s_wait_kmcnt 0x0
	s_add_nc_u64 s[4:5], s[4:5], s[0:1]
	s_cselect_b32 s0, -1, 0
	s_clause 0x1
	global_load_b64 v[6:7], v1, s[4:5]
	global_load_b96 v[2:4], v1, s[4:5] offset:4
	s_wait_xcnt 0x0
	v_lshlrev_b32_e32 v1, 2, v0
	s_and_b32 vcc_lo, exec_lo, s0
	v_cmp_ne_u32_e64 s0, 0x7f, v0
	s_wait_loadcnt 0x0
	v_cmp_lt_i32_e64 s2, v2, v6
	v_cmp_lt_i32_e64 s1, v4, v3
	s_cbranch_vccz .LBB32_4
; %bb.1:
	v_cmp_lt_i32_e32 vcc_lo, v3, v2
	v_cndmask_b32_e64 v5, 0, 1, s2
	v_cndmask_b32_e64 v9, 0, 1, s1
	ds_store_b32 v1, v6 offset:512
	s_wait_dscnt 0x0
	v_cndmask_b32_e64 v8, 0, 1, vcc_lo
	s_barrier_signal -1
	s_barrier_wait -1
	s_delay_alu instid0(VALU_DEP_1)
	v_perm_b32 v8, v8, v5, 0x5040100
	v_perm_b32 v5, 1, v9, 0x5040100
	s_and_saveexec_b32 s1, s0
	s_cbranch_execz .LBB32_3
; %bb.2:
	ds_load_b32 v9, v1 offset:516
	s_wait_dscnt 0x0
	v_cmp_lt_i32_e32 vcc_lo, v9, v4
	v_cndmask_b32_e64 v9, 0, 1, vcc_lo
	s_delay_alu instid0(VALU_DEP_1)
	v_perm_b32 v5, v9, v5, 0x5040100
.LBB32_3:
	s_or_b32 exec_lo, exec_lo, s1
	s_cbranch_execz .LBB32_5
	s_branch .LBB32_8
.LBB32_4:
                                        ; implicit-def: $vgpr5
                                        ; implicit-def: $vgpr8
.LBB32_5:
	s_load_b32 s0, s[4:5], 0x800
	v_cmp_ne_u32_e32 vcc_lo, 0x7f, v0
	ds_store_b32 v1, v6 offset:512
	s_wait_dscnt 0x0
	s_barrier_signal -1
	s_barrier_wait -1
	s_wait_kmcnt 0x0
	v_mov_b32_e32 v0, s0
	s_and_saveexec_b32 s0, vcc_lo
; %bb.6:
	ds_load_b32 v0, v1 offset:516
; %bb.7:
	s_or_b32 exec_lo, exec_lo, s0
	v_cmp_lt_i32_e32 vcc_lo, v2, v6
	v_cndmask_b32_e64 v2, 0, 1, vcc_lo
	v_cmp_lt_i32_e32 vcc_lo, v3, v7
	v_cndmask_b32_e64 v5, 0, 1, vcc_lo
	v_cmp_lt_i32_e32 vcc_lo, v4, v3
	s_delay_alu instid0(VALU_DEP_2) | instskip(SKIP_4) | instid1(VALU_DEP_1)
	v_perm_b32 v8, v5, v2, 0x5040100
	v_cndmask_b32_e64 v3, 0, 1, vcc_lo
	s_wait_dscnt 0x0
	v_cmp_lt_i32_e32 vcc_lo, v0, v4
	v_cndmask_b32_e64 v0, 0, 1, vcc_lo
	v_perm_b32 v5, v0, v3, 0x5040100
.LBB32_8:
	s_delay_alu instid0(VALU_DEP_1) | instskip(SKIP_3) | instid1(VALU_DEP_4)
	v_dual_lshrrev_b32 v2, 16, v8 :: v_dual_lshrrev_b32 v3, 16, v5
	v_bfe_i32 v0, v8, 0, 16
	v_bfe_i32 v4, v5, 0, 16
	v_lshlrev_b32_e32 v8, 3, v1
	v_bfe_i32 v2, v2, 0, 16
	v_bfe_i32 v6, v3, 0, 16
	v_ashrrev_i32_e32 v1, 31, v0
	v_ashrrev_i32_e32 v5, 31, v4
	s_lshl_b64 s[0:1], s[8:9], 3
	v_ashrrev_i32_e32 v3, 31, v2
	v_ashrrev_i32_e32 v7, 31, v6
	s_add_nc_u64 s[0:1], s[6:7], s[0:1]
	s_clause 0x1
	global_store_b128 v8, v[0:3], s[0:1]
	global_store_b128 v8, v[4:7], s[0:1] offset:16
	s_endpgm
	.section	.rodata,"a",@progbits
	.p2align	6, 0x0
	.amdhsa_kernel _Z17flag_tails_kernelIisN10test_utils4lessELj128ELj4EEvPT_Px
		.amdhsa_group_segment_fixed_size 1024
		.amdhsa_private_segment_fixed_size 0
		.amdhsa_kernarg_size 16
		.amdhsa_user_sgpr_count 2
		.amdhsa_user_sgpr_dispatch_ptr 0
		.amdhsa_user_sgpr_queue_ptr 0
		.amdhsa_user_sgpr_kernarg_segment_ptr 1
		.amdhsa_user_sgpr_dispatch_id 0
		.amdhsa_user_sgpr_kernarg_preload_length 0
		.amdhsa_user_sgpr_kernarg_preload_offset 0
		.amdhsa_user_sgpr_private_segment_size 0
		.amdhsa_wavefront_size32 1
		.amdhsa_uses_dynamic_stack 0
		.amdhsa_enable_private_segment 0
		.amdhsa_system_sgpr_workgroup_id_x 1
		.amdhsa_system_sgpr_workgroup_id_y 0
		.amdhsa_system_sgpr_workgroup_id_z 0
		.amdhsa_system_sgpr_workgroup_info 0
		.amdhsa_system_vgpr_workitem_id 0
		.amdhsa_next_free_vgpr 10
		.amdhsa_next_free_sgpr 10
		.amdhsa_named_barrier_count 0
		.amdhsa_reserve_vcc 1
		.amdhsa_float_round_mode_32 0
		.amdhsa_float_round_mode_16_64 0
		.amdhsa_float_denorm_mode_32 3
		.amdhsa_float_denorm_mode_16_64 3
		.amdhsa_fp16_overflow 0
		.amdhsa_memory_ordered 1
		.amdhsa_forward_progress 1
		.amdhsa_inst_pref_size 5
		.amdhsa_round_robin_scheduling 0
		.amdhsa_exception_fp_ieee_invalid_op 0
		.amdhsa_exception_fp_denorm_src 0
		.amdhsa_exception_fp_ieee_div_zero 0
		.amdhsa_exception_fp_ieee_overflow 0
		.amdhsa_exception_fp_ieee_underflow 0
		.amdhsa_exception_fp_ieee_inexact 0
		.amdhsa_exception_int_div_zero 0
	.end_amdhsa_kernel
	.section	.text._Z17flag_tails_kernelIisN10test_utils4lessELj128ELj4EEvPT_Px,"axG",@progbits,_Z17flag_tails_kernelIisN10test_utils4lessELj128ELj4EEvPT_Px,comdat
.Lfunc_end32:
	.size	_Z17flag_tails_kernelIisN10test_utils4lessELj128ELj4EEvPT_Px, .Lfunc_end32-_Z17flag_tails_kernelIisN10test_utils4lessELj128ELj4EEvPT_Px
                                        ; -- End function
	.set _Z17flag_tails_kernelIisN10test_utils4lessELj128ELj4EEvPT_Px.num_vgpr, 10
	.set _Z17flag_tails_kernelIisN10test_utils4lessELj128ELj4EEvPT_Px.num_agpr, 0
	.set _Z17flag_tails_kernelIisN10test_utils4lessELj128ELj4EEvPT_Px.numbered_sgpr, 10
	.set _Z17flag_tails_kernelIisN10test_utils4lessELj128ELj4EEvPT_Px.num_named_barrier, 0
	.set _Z17flag_tails_kernelIisN10test_utils4lessELj128ELj4EEvPT_Px.private_seg_size, 0
	.set _Z17flag_tails_kernelIisN10test_utils4lessELj128ELj4EEvPT_Px.uses_vcc, 1
	.set _Z17flag_tails_kernelIisN10test_utils4lessELj128ELj4EEvPT_Px.uses_flat_scratch, 0
	.set _Z17flag_tails_kernelIisN10test_utils4lessELj128ELj4EEvPT_Px.has_dyn_sized_stack, 0
	.set _Z17flag_tails_kernelIisN10test_utils4lessELj128ELj4EEvPT_Px.has_recursion, 0
	.set _Z17flag_tails_kernelIisN10test_utils4lessELj128ELj4EEvPT_Px.has_indirect_call, 0
	.section	.AMDGPU.csdata,"",@progbits
; Kernel info:
; codeLenInByte = 544
; TotalNumSgprs: 12
; NumVgprs: 10
; ScratchSize: 0
; MemoryBound: 0
; FloatMode: 240
; IeeeMode: 1
; LDSByteSize: 1024 bytes/workgroup (compile time only)
; SGPRBlocks: 0
; VGPRBlocks: 0
; NumSGPRsForWavesPerEU: 12
; NumVGPRsForWavesPerEU: 10
; NamedBarCnt: 0
; Occupancy: 16
; WaveLimiterHint : 0
; COMPUTE_PGM_RSRC2:SCRATCH_EN: 0
; COMPUTE_PGM_RSRC2:USER_SGPR: 2
; COMPUTE_PGM_RSRC2:TRAP_HANDLER: 0
; COMPUTE_PGM_RSRC2:TGID_X_EN: 1
; COMPUTE_PGM_RSRC2:TGID_Y_EN: 0
; COMPUTE_PGM_RSRC2:TGID_Z_EN: 0
; COMPUTE_PGM_RSRC2:TIDIG_COMP_CNT: 0
	.section	.text._Z17flag_tails_kernelIic15custom_flag_op2IiELj64ELj2EEvPT_Px,"axG",@progbits,_Z17flag_tails_kernelIic15custom_flag_op2IiELj64ELj2EEvPT_Px,comdat
	.protected	_Z17flag_tails_kernelIic15custom_flag_op2IiELj64ELj2EEvPT_Px ; -- Begin function _Z17flag_tails_kernelIic15custom_flag_op2IiELj64ELj2EEvPT_Px
	.globl	_Z17flag_tails_kernelIic15custom_flag_op2IiELj64ELj2EEvPT_Px
	.p2align	8
	.type	_Z17flag_tails_kernelIic15custom_flag_op2IiELj64ELj2EEvPT_Px,@function
_Z17flag_tails_kernelIic15custom_flag_op2IiELj64ELj2EEvPT_Px: ; @_Z17flag_tails_kernelIic15custom_flag_op2IiELj64ELj2EEvPT_Px
; %bb.0:
	s_load_b128 s[0:3], s[0:1], 0x0
	s_bfe_u32 s4, ttmp6, 0x4000c
	s_and_b32 s5, ttmp6, 15
	s_add_co_i32 s4, s4, 1
	s_getreg_b32 s6, hwreg(HW_REG_IB_STS2, 6, 4)
	s_mul_i32 s4, ttmp9, s4
	v_lshlrev_b32_e32 v4, 2, v0
	s_add_co_i32 s5, s5, s4
	s_cmp_eq_u32 s6, 0
	s_cselect_b32 s8, ttmp9, s5
	s_mov_b32 s5, 0
	s_lshl_b32 s4, s8, 7
	s_delay_alu instid0(SALU_CYCLE_1)
	s_lshl_b64 s[6:7], s[4:5], 2
	s_bitcmp1_b32 s8, 0
	s_wait_kmcnt 0x0
	s_add_nc_u64 s[6:7], s[0:1], s[6:7]
	s_cselect_b32 s0, -1, 0
	global_load_b64 v[2:3], v0, s[6:7] scale_offset
	s_and_b32 vcc_lo, exec_lo, s0
	v_cmp_ne_u32_e64 s0, 63, v0
	s_wait_loadcnt 0x0
	v_sub_nc_u32_e32 v1, v3, v2
	s_delay_alu instid0(VALU_DEP_1)
	v_cmp_lt_i32_e64 s1, 5, v1
	s_cbranch_vccz .LBB33_4
; %bb.1:
	v_cndmask_b32_e64 v5, 0, 1, s1
	ds_store_b32 v4, v2 offset:256
	s_wait_dscnt 0x0
	s_barrier_signal -1
	s_barrier_wait -1
	v_or_b32_e32 v5, 0x100, v5
	s_delay_alu instid0(VALU_DEP_1)
	v_and_b32_e32 v6, 0xffff, v5
	s_and_saveexec_b32 s1, s0
	s_cbranch_execz .LBB33_3
; %bb.2:
	ds_load_b32 v5, v4 offset:260
	s_wait_dscnt 0x0
	v_sub_nc_u32_e32 v5, v5, v3
	s_delay_alu instid0(VALU_DEP_1) | instskip(SKIP_1) | instid1(VALU_DEP_1)
	v_cmp_lt_i32_e32 vcc_lo, 5, v5
	v_cndmask_b32_e64 v5, 0, 1, vcc_lo
	v_lshlrev_b16 v5, 8, v5
	s_delay_alu instid0(VALU_DEP_1) | instskip(NEXT) | instid1(VALU_DEP_1)
	v_bitop3_b16 v5, v6, v5, 0xff bitop3:0xec
	v_and_b32_e32 v6, 0xffff, v5
.LBB33_3:
	s_or_b32 exec_lo, exec_lo, s1
	v_lshlrev_b32_e32 v5, 1, v0
	s_cbranch_execz .LBB33_5
	s_branch .LBB33_8
.LBB33_4:
                                        ; implicit-def: $vgpr6
	v_lshlrev_b32_e32 v5, 1, v0
.LBB33_5:
	s_load_b32 s0, s[6:7], 0x200
	v_cmp_ne_u32_e32 vcc_lo, 63, v0
	ds_store_b32 v4, v2 offset:256
	s_wait_dscnt 0x0
	s_barrier_signal -1
	s_barrier_wait -1
	s_wait_kmcnt 0x0
	v_mov_b32_e32 v0, s0
	s_and_saveexec_b32 s0, vcc_lo
; %bb.6:
	ds_load_b32 v0, v4 offset:260
; %bb.7:
	s_or_b32 exec_lo, exec_lo, s0
	s_wait_dscnt 0x0
	v_sub_nc_u32_e32 v0, v0, v3
	s_delay_alu instid0(VALU_DEP_1) | instskip(SKIP_2) | instid1(VALU_DEP_2)
	v_cmp_lt_i32_e32 vcc_lo, 5, v0
	v_cndmask_b32_e64 v0, 0, 1, vcc_lo
	v_cmp_lt_i32_e32 vcc_lo, 5, v1
	v_lshlrev_b16 v0, 8, v0
	v_cndmask_b32_e64 v1, 0, 1, vcc_lo
	s_delay_alu instid0(VALU_DEP_1) | instskip(NEXT) | instid1(VALU_DEP_1)
	v_or_b32_e32 v0, v1, v0
	v_and_b32_e32 v6, 0xffff, v0
.LBB33_8:
	s_delay_alu instid0(VALU_DEP_1) | instskip(SKIP_3) | instid1(SALU_CYCLE_1)
	v_lshrrev_b16 v1, 8, v6
	v_bfe_i32 v0, v6, 0, 8
	v_lshlrev_b32_e32 v4, 3, v5
	s_lshl_b64 s[0:1], s[4:5], 3
	s_add_nc_u64 s[0:1], s[2:3], s[0:1]
	v_bfe_i32 v2, v1, 0, 8
	s_delay_alu instid0(VALU_DEP_1)
	v_dual_ashrrev_i32 v1, 31, v0 :: v_dual_ashrrev_i32 v3, 31, v2
	global_store_b128 v4, v[0:3], s[0:1]
	s_endpgm
	.section	.rodata,"a",@progbits
	.p2align	6, 0x0
	.amdhsa_kernel _Z17flag_tails_kernelIic15custom_flag_op2IiELj64ELj2EEvPT_Px
		.amdhsa_group_segment_fixed_size 512
		.amdhsa_private_segment_fixed_size 0
		.amdhsa_kernarg_size 16
		.amdhsa_user_sgpr_count 2
		.amdhsa_user_sgpr_dispatch_ptr 0
		.amdhsa_user_sgpr_queue_ptr 0
		.amdhsa_user_sgpr_kernarg_segment_ptr 1
		.amdhsa_user_sgpr_dispatch_id 0
		.amdhsa_user_sgpr_kernarg_preload_length 0
		.amdhsa_user_sgpr_kernarg_preload_offset 0
		.amdhsa_user_sgpr_private_segment_size 0
		.amdhsa_wavefront_size32 1
		.amdhsa_uses_dynamic_stack 0
		.amdhsa_enable_private_segment 0
		.amdhsa_system_sgpr_workgroup_id_x 1
		.amdhsa_system_sgpr_workgroup_id_y 0
		.amdhsa_system_sgpr_workgroup_id_z 0
		.amdhsa_system_sgpr_workgroup_info 0
		.amdhsa_system_vgpr_workitem_id 0
		.amdhsa_next_free_vgpr 7
		.amdhsa_next_free_sgpr 9
		.amdhsa_named_barrier_count 0
		.amdhsa_reserve_vcc 1
		.amdhsa_float_round_mode_32 0
		.amdhsa_float_round_mode_16_64 0
		.amdhsa_float_denorm_mode_32 3
		.amdhsa_float_denorm_mode_16_64 3
		.amdhsa_fp16_overflow 0
		.amdhsa_memory_ordered 1
		.amdhsa_forward_progress 1
		.amdhsa_inst_pref_size 4
		.amdhsa_round_robin_scheduling 0
		.amdhsa_exception_fp_ieee_invalid_op 0
		.amdhsa_exception_fp_denorm_src 0
		.amdhsa_exception_fp_ieee_div_zero 0
		.amdhsa_exception_fp_ieee_overflow 0
		.amdhsa_exception_fp_ieee_underflow 0
		.amdhsa_exception_fp_ieee_inexact 0
		.amdhsa_exception_int_div_zero 0
	.end_amdhsa_kernel
	.section	.text._Z17flag_tails_kernelIic15custom_flag_op2IiELj64ELj2EEvPT_Px,"axG",@progbits,_Z17flag_tails_kernelIic15custom_flag_op2IiELj64ELj2EEvPT_Px,comdat
.Lfunc_end33:
	.size	_Z17flag_tails_kernelIic15custom_flag_op2IiELj64ELj2EEvPT_Px, .Lfunc_end33-_Z17flag_tails_kernelIic15custom_flag_op2IiELj64ELj2EEvPT_Px
                                        ; -- End function
	.set _Z17flag_tails_kernelIic15custom_flag_op2IiELj64ELj2EEvPT_Px.num_vgpr, 7
	.set _Z17flag_tails_kernelIic15custom_flag_op2IiELj64ELj2EEvPT_Px.num_agpr, 0
	.set _Z17flag_tails_kernelIic15custom_flag_op2IiELj64ELj2EEvPT_Px.numbered_sgpr, 9
	.set _Z17flag_tails_kernelIic15custom_flag_op2IiELj64ELj2EEvPT_Px.num_named_barrier, 0
	.set _Z17flag_tails_kernelIic15custom_flag_op2IiELj64ELj2EEvPT_Px.private_seg_size, 0
	.set _Z17flag_tails_kernelIic15custom_flag_op2IiELj64ELj2EEvPT_Px.uses_vcc, 1
	.set _Z17flag_tails_kernelIic15custom_flag_op2IiELj64ELj2EEvPT_Px.uses_flat_scratch, 0
	.set _Z17flag_tails_kernelIic15custom_flag_op2IiELj64ELj2EEvPT_Px.has_dyn_sized_stack, 0
	.set _Z17flag_tails_kernelIic15custom_flag_op2IiELj64ELj2EEvPT_Px.has_recursion, 0
	.set _Z17flag_tails_kernelIic15custom_flag_op2IiELj64ELj2EEvPT_Px.has_indirect_call, 0
	.section	.AMDGPU.csdata,"",@progbits
; Kernel info:
; codeLenInByte = 456
; TotalNumSgprs: 11
; NumVgprs: 7
; ScratchSize: 0
; MemoryBound: 0
; FloatMode: 240
; IeeeMode: 1
; LDSByteSize: 512 bytes/workgroup (compile time only)
; SGPRBlocks: 0
; VGPRBlocks: 0
; NumSGPRsForWavesPerEU: 11
; NumVGPRsForWavesPerEU: 7
; NamedBarCnt: 0
; Occupancy: 16
; WaveLimiterHint : 0
; COMPUTE_PGM_RSRC2:SCRATCH_EN: 0
; COMPUTE_PGM_RSRC2:USER_SGPR: 2
; COMPUTE_PGM_RSRC2:TRAP_HANDLER: 0
; COMPUTE_PGM_RSRC2:TGID_X_EN: 1
; COMPUTE_PGM_RSRC2:TGID_Y_EN: 0
; COMPUTE_PGM_RSRC2:TGID_Z_EN: 0
; COMPUTE_PGM_RSRC2:TIDIG_COMP_CNT: 0
	.section	.text._Z17flag_tails_kernelIhbN6hipcub8EqualityELj255ELj1EEvPT_Px,"axG",@progbits,_Z17flag_tails_kernelIhbN6hipcub8EqualityELj255ELj1EEvPT_Px,comdat
	.protected	_Z17flag_tails_kernelIhbN6hipcub8EqualityELj255ELj1EEvPT_Px ; -- Begin function _Z17flag_tails_kernelIhbN6hipcub8EqualityELj255ELj1EEvPT_Px
	.globl	_Z17flag_tails_kernelIhbN6hipcub8EqualityELj255ELj1EEvPT_Px
	.p2align	8
	.type	_Z17flag_tails_kernelIhbN6hipcub8EqualityELj255ELj1EEvPT_Px,@function
_Z17flag_tails_kernelIhbN6hipcub8EqualityELj255ELj1EEvPT_Px: ; @_Z17flag_tails_kernelIhbN6hipcub8EqualityELj255ELj1EEvPT_Px
; %bb.0:
	s_load_b128 s[4:7], s[0:1], 0x0
	s_wait_xcnt 0x0
	s_bfe_u32 s0, ttmp6, 0x4000c
	s_and_b32 s1, ttmp6, 15
	s_add_co_i32 s0, s0, 1
	s_getreg_b32 s2, hwreg(HW_REG_IB_STS2, 6, 4)
	s_mul_i32 s0, ttmp9, s0
	s_mov_b32 s3, 0
	s_add_co_i32 s1, s1, s0
	s_cmp_eq_u32 s2, 0
	s_cselect_b32 s8, ttmp9, s1
	s_delay_alu instid0(SALU_CYCLE_1)
	s_mul_i32 s2, s8, 0xff
	s_bitcmp1_b32 s8, 0
	s_wait_kmcnt 0x0
	s_add_nc_u64 s[0:1], s[4:5], s[2:3]
	global_load_u8 v1, v0, s[0:1]
	s_wait_xcnt 0x0
	s_cselect_b32 s0, -1, 0
	s_delay_alu instid0(SALU_CYCLE_1)
	s_and_b32 vcc_lo, exec_lo, s0
	v_cmp_ne_u32_e64 s0, 0xfe, v0
	s_cbranch_vccz .LBB34_4
; %bb.1:
	s_mov_b32 s1, -1
	s_wait_loadcnt 0x0
	ds_store_b8 v0, v1 offset:255
	s_wait_dscnt 0x0
	s_barrier_signal -1
	s_barrier_wait -1
	s_and_saveexec_b32 s8, s0
	s_cbranch_execz .LBB34_3
; %bb.2:
	ds_load_u8 v2, v0 offset:256
	v_and_b32_e32 v3, 0xff, v1
	s_wait_dscnt 0x0
	s_delay_alu instid0(VALU_DEP_1)
	v_cmp_eq_u16_e32 vcc_lo, v2, v3
	s_or_not1_b32 s1, vcc_lo, exec_lo
.LBB34_3:
	s_or_b32 exec_lo, exec_lo, s8
	s_cbranch_execz .LBB34_5
	s_branch .LBB34_8
.LBB34_4:
                                        ; implicit-def: $sgpr1
.LBB34_5:
	s_add_co_i32 s0, s2, 0xff
	s_wait_loadcnt 0x0
	ds_store_b8 v0, v1 offset:255
	v_mov_b32_e32 v2, s0
	s_mov_b32 s0, exec_lo
	global_load_u8 v2, v2, s[4:5]
	s_wait_loadcnt_dscnt 0x0
	s_barrier_signal -1
	s_barrier_wait -1
	v_cmpx_ne_u32_e32 0xfe, v0
; %bb.6:
	ds_load_u8 v2, v0 offset:256
; %bb.7:
	s_or_b32 exec_lo, exec_lo, s0
	v_and_b32_e32 v1, 0xff, v1
	s_wait_dscnt 0x0
	v_and_b32_e32 v2, 0xff, v2
	s_delay_alu instid0(VALU_DEP_1)
	v_cmp_eq_u16_e64 s1, v2, v1
.LBB34_8:
	s_mov_b32 s0, 0
	s_delay_alu instid0(VALU_DEP_1) | instskip(SKIP_2) | instid1(SALU_CYCLE_1)
	v_cndmask_b32_e64 v2, 0, 1, s1
	v_mov_b32_e32 v3, s0
	s_lshl_b64 s[0:1], s[2:3], 3
	s_add_nc_u64 s[0:1], s[6:7], s[0:1]
	global_store_b64 v0, v[2:3], s[0:1] scale_offset
	s_endpgm
	.section	.rodata,"a",@progbits
	.p2align	6, 0x0
	.amdhsa_kernel _Z17flag_tails_kernelIhbN6hipcub8EqualityELj255ELj1EEvPT_Px
		.amdhsa_group_segment_fixed_size 510
		.amdhsa_private_segment_fixed_size 0
		.amdhsa_kernarg_size 16
		.amdhsa_user_sgpr_count 2
		.amdhsa_user_sgpr_dispatch_ptr 0
		.amdhsa_user_sgpr_queue_ptr 0
		.amdhsa_user_sgpr_kernarg_segment_ptr 1
		.amdhsa_user_sgpr_dispatch_id 0
		.amdhsa_user_sgpr_kernarg_preload_length 0
		.amdhsa_user_sgpr_kernarg_preload_offset 0
		.amdhsa_user_sgpr_private_segment_size 0
		.amdhsa_wavefront_size32 1
		.amdhsa_uses_dynamic_stack 0
		.amdhsa_enable_private_segment 0
		.amdhsa_system_sgpr_workgroup_id_x 1
		.amdhsa_system_sgpr_workgroup_id_y 0
		.amdhsa_system_sgpr_workgroup_id_z 0
		.amdhsa_system_sgpr_workgroup_info 0
		.amdhsa_system_vgpr_workitem_id 0
		.amdhsa_next_free_vgpr 4
		.amdhsa_next_free_sgpr 9
		.amdhsa_named_barrier_count 0
		.amdhsa_reserve_vcc 1
		.amdhsa_float_round_mode_32 0
		.amdhsa_float_round_mode_16_64 0
		.amdhsa_float_denorm_mode_32 3
		.amdhsa_float_denorm_mode_16_64 3
		.amdhsa_fp16_overflow 0
		.amdhsa_memory_ordered 1
		.amdhsa_forward_progress 1
		.amdhsa_inst_pref_size 3
		.amdhsa_round_robin_scheduling 0
		.amdhsa_exception_fp_ieee_invalid_op 0
		.amdhsa_exception_fp_denorm_src 0
		.amdhsa_exception_fp_ieee_div_zero 0
		.amdhsa_exception_fp_ieee_overflow 0
		.amdhsa_exception_fp_ieee_underflow 0
		.amdhsa_exception_fp_ieee_inexact 0
		.amdhsa_exception_int_div_zero 0
	.end_amdhsa_kernel
	.section	.text._Z17flag_tails_kernelIhbN6hipcub8EqualityELj255ELj1EEvPT_Px,"axG",@progbits,_Z17flag_tails_kernelIhbN6hipcub8EqualityELj255ELj1EEvPT_Px,comdat
.Lfunc_end34:
	.size	_Z17flag_tails_kernelIhbN6hipcub8EqualityELj255ELj1EEvPT_Px, .Lfunc_end34-_Z17flag_tails_kernelIhbN6hipcub8EqualityELj255ELj1EEvPT_Px
                                        ; -- End function
	.set _Z17flag_tails_kernelIhbN6hipcub8EqualityELj255ELj1EEvPT_Px.num_vgpr, 4
	.set _Z17flag_tails_kernelIhbN6hipcub8EqualityELj255ELj1EEvPT_Px.num_agpr, 0
	.set _Z17flag_tails_kernelIhbN6hipcub8EqualityELj255ELj1EEvPT_Px.numbered_sgpr, 9
	.set _Z17flag_tails_kernelIhbN6hipcub8EqualityELj255ELj1EEvPT_Px.num_named_barrier, 0
	.set _Z17flag_tails_kernelIhbN6hipcub8EqualityELj255ELj1EEvPT_Px.private_seg_size, 0
	.set _Z17flag_tails_kernelIhbN6hipcub8EqualityELj255ELj1EEvPT_Px.uses_vcc, 1
	.set _Z17flag_tails_kernelIhbN6hipcub8EqualityELj255ELj1EEvPT_Px.uses_flat_scratch, 0
	.set _Z17flag_tails_kernelIhbN6hipcub8EqualityELj255ELj1EEvPT_Px.has_dyn_sized_stack, 0
	.set _Z17flag_tails_kernelIhbN6hipcub8EqualityELj255ELj1EEvPT_Px.has_recursion, 0
	.set _Z17flag_tails_kernelIhbN6hipcub8EqualityELj255ELj1EEvPT_Px.has_indirect_call, 0
	.section	.AMDGPU.csdata,"",@progbits
; Kernel info:
; codeLenInByte = 348
; TotalNumSgprs: 11
; NumVgprs: 4
; ScratchSize: 0
; MemoryBound: 0
; FloatMode: 240
; IeeeMode: 1
; LDSByteSize: 510 bytes/workgroup (compile time only)
; SGPRBlocks: 0
; VGPRBlocks: 0
; NumSGPRsForWavesPerEU: 11
; NumVGPRsForWavesPerEU: 4
; NamedBarCnt: 0
; Occupancy: 16
; WaveLimiterHint : 0
; COMPUTE_PGM_RSRC2:SCRATCH_EN: 0
; COMPUTE_PGM_RSRC2:USER_SGPR: 2
; COMPUTE_PGM_RSRC2:TRAP_HANDLER: 0
; COMPUTE_PGM_RSRC2:TGID_X_EN: 1
; COMPUTE_PGM_RSRC2:TGID_Y_EN: 0
; COMPUTE_PGM_RSRC2:TGID_Z_EN: 0
; COMPUTE_PGM_RSRC2:TIDIG_COMP_CNT: 0
	.section	.text._Z17flag_tails_kernelIjxN6hipcub10InequalityELj162ELj1EEvPT_Px,"axG",@progbits,_Z17flag_tails_kernelIjxN6hipcub10InequalityELj162ELj1EEvPT_Px,comdat
	.protected	_Z17flag_tails_kernelIjxN6hipcub10InequalityELj162ELj1EEvPT_Px ; -- Begin function _Z17flag_tails_kernelIjxN6hipcub10InequalityELj162ELj1EEvPT_Px
	.globl	_Z17flag_tails_kernelIjxN6hipcub10InequalityELj162ELj1EEvPT_Px
	.p2align	8
	.type	_Z17flag_tails_kernelIjxN6hipcub10InequalityELj162ELj1EEvPT_Px,@function
_Z17flag_tails_kernelIjxN6hipcub10InequalityELj162ELj1EEvPT_Px: ; @_Z17flag_tails_kernelIjxN6hipcub10InequalityELj162ELj1EEvPT_Px
; %bb.0:
	s_load_b128 s[4:7], s[0:1], 0x0
	s_wait_xcnt 0x0
	s_bfe_u32 s0, ttmp6, 0x4000c
	s_and_b32 s1, ttmp6, 15
	s_add_co_i32 s0, s0, 1
	s_getreg_b32 s2, hwreg(HW_REG_IB_STS2, 6, 4)
	s_mul_i32 s0, ttmp9, s0
	s_mov_b32 s3, 0
	s_add_co_i32 s1, s1, s0
	s_cmp_eq_u32 s2, 0
	v_lshlrev_b32_e32 v2, 2, v0
	s_cselect_b32 s8, ttmp9, s1
	s_delay_alu instid0(SALU_CYCLE_1) | instskip(NEXT) | instid1(SALU_CYCLE_1)
	s_mul_i32 s2, s8, 0xa2
	s_lshl_b64 s[0:1], s[2:3], 2
	s_bitcmp1_b32 s8, 0
	s_wait_kmcnt 0x0
	s_add_nc_u64 s[0:1], s[4:5], s[0:1]
	global_load_b32 v1, v0, s[0:1] scale_offset
	s_wait_xcnt 0x0
	s_cselect_b32 s0, -1, 0
	s_delay_alu instid0(SALU_CYCLE_1)
	s_and_b32 vcc_lo, exec_lo, s0
	v_cmp_ne_u32_e64 s0, 0xa1, v0
	s_cbranch_vccz .LBB35_4
; %bb.1:
	s_mov_b32 s1, -1
	s_wait_loadcnt 0x0
	ds_store_b32 v2, v1 offset:648
	s_wait_dscnt 0x0
	s_barrier_signal -1
	s_barrier_wait -1
	s_and_saveexec_b32 s8, s0
	s_cbranch_execz .LBB35_3
; %bb.2:
	ds_load_b32 v3, v2 offset:652
	s_wait_dscnt 0x0
	v_cmp_ne_u32_e32 vcc_lo, v3, v1
	s_or_not1_b32 s1, vcc_lo, exec_lo
.LBB35_3:
	s_or_b32 exec_lo, exec_lo, s8
	s_cbranch_execz .LBB35_5
	s_branch .LBB35_8
.LBB35_4:
                                        ; implicit-def: $sgpr1
.LBB35_5:
	s_add_co_i32 s0, s2, 0xa2
	s_wait_loadcnt 0x0
	ds_store_b32 v2, v1 offset:648
	s_load_b32 s0, s[4:5], s0 offset:0x0 scale_offset
	s_wait_dscnt 0x0
	s_barrier_signal -1
	s_barrier_wait -1
	s_wait_kmcnt 0x0
	v_mov_b32_e32 v3, s0
	s_mov_b32 s0, exec_lo
	v_cmpx_ne_u32_e32 0xa1, v0
; %bb.6:
	ds_load_b32 v3, v2 offset:652
; %bb.7:
	s_or_b32 exec_lo, exec_lo, s0
	s_wait_dscnt 0x0
	v_cmp_ne_u32_e64 s1, v3, v1
.LBB35_8:
	s_mov_b32 s0, 0
	s_delay_alu instid0(VALU_DEP_1) | instskip(SKIP_2) | instid1(SALU_CYCLE_1)
	v_cndmask_b32_e64 v2, 0, 1, s1
	v_mov_b32_e32 v3, s0
	s_lshl_b64 s[0:1], s[2:3], 3
	s_add_nc_u64 s[0:1], s[6:7], s[0:1]
	global_store_b64 v0, v[2:3], s[0:1] scale_offset
	s_endpgm
	.section	.rodata,"a",@progbits
	.p2align	6, 0x0
	.amdhsa_kernel _Z17flag_tails_kernelIjxN6hipcub10InequalityELj162ELj1EEvPT_Px
		.amdhsa_group_segment_fixed_size 1296
		.amdhsa_private_segment_fixed_size 0
		.amdhsa_kernarg_size 16
		.amdhsa_user_sgpr_count 2
		.amdhsa_user_sgpr_dispatch_ptr 0
		.amdhsa_user_sgpr_queue_ptr 0
		.amdhsa_user_sgpr_kernarg_segment_ptr 1
		.amdhsa_user_sgpr_dispatch_id 0
		.amdhsa_user_sgpr_kernarg_preload_length 0
		.amdhsa_user_sgpr_kernarg_preload_offset 0
		.amdhsa_user_sgpr_private_segment_size 0
		.amdhsa_wavefront_size32 1
		.amdhsa_uses_dynamic_stack 0
		.amdhsa_enable_private_segment 0
		.amdhsa_system_sgpr_workgroup_id_x 1
		.amdhsa_system_sgpr_workgroup_id_y 0
		.amdhsa_system_sgpr_workgroup_id_z 0
		.amdhsa_system_sgpr_workgroup_info 0
		.amdhsa_system_vgpr_workitem_id 0
		.amdhsa_next_free_vgpr 4
		.amdhsa_next_free_sgpr 9
		.amdhsa_named_barrier_count 0
		.amdhsa_reserve_vcc 1
		.amdhsa_float_round_mode_32 0
		.amdhsa_float_round_mode_16_64 0
		.amdhsa_float_denorm_mode_32 3
		.amdhsa_float_denorm_mode_16_64 3
		.amdhsa_fp16_overflow 0
		.amdhsa_memory_ordered 1
		.amdhsa_forward_progress 1
		.amdhsa_inst_pref_size 3
		.amdhsa_round_robin_scheduling 0
		.amdhsa_exception_fp_ieee_invalid_op 0
		.amdhsa_exception_fp_denorm_src 0
		.amdhsa_exception_fp_ieee_div_zero 0
		.amdhsa_exception_fp_ieee_overflow 0
		.amdhsa_exception_fp_ieee_underflow 0
		.amdhsa_exception_fp_ieee_inexact 0
		.amdhsa_exception_int_div_zero 0
	.end_amdhsa_kernel
	.section	.text._Z17flag_tails_kernelIjxN6hipcub10InequalityELj162ELj1EEvPT_Px,"axG",@progbits,_Z17flag_tails_kernelIjxN6hipcub10InequalityELj162ELj1EEvPT_Px,comdat
.Lfunc_end35:
	.size	_Z17flag_tails_kernelIjxN6hipcub10InequalityELj162ELj1EEvPT_Px, .Lfunc_end35-_Z17flag_tails_kernelIjxN6hipcub10InequalityELj162ELj1EEvPT_Px
                                        ; -- End function
	.set _Z17flag_tails_kernelIjxN6hipcub10InequalityELj162ELj1EEvPT_Px.num_vgpr, 4
	.set _Z17flag_tails_kernelIjxN6hipcub10InequalityELj162ELj1EEvPT_Px.num_agpr, 0
	.set _Z17flag_tails_kernelIjxN6hipcub10InequalityELj162ELj1EEvPT_Px.numbered_sgpr, 9
	.set _Z17flag_tails_kernelIjxN6hipcub10InequalityELj162ELj1EEvPT_Px.num_named_barrier, 0
	.set _Z17flag_tails_kernelIjxN6hipcub10InequalityELj162ELj1EEvPT_Px.private_seg_size, 0
	.set _Z17flag_tails_kernelIjxN6hipcub10InequalityELj162ELj1EEvPT_Px.uses_vcc, 1
	.set _Z17flag_tails_kernelIjxN6hipcub10InequalityELj162ELj1EEvPT_Px.uses_flat_scratch, 0
	.set _Z17flag_tails_kernelIjxN6hipcub10InequalityELj162ELj1EEvPT_Px.has_dyn_sized_stack, 0
	.set _Z17flag_tails_kernelIjxN6hipcub10InequalityELj162ELj1EEvPT_Px.has_recursion, 0
	.set _Z17flag_tails_kernelIjxN6hipcub10InequalityELj162ELj1EEvPT_Px.has_indirect_call, 0
	.section	.AMDGPU.csdata,"",@progbits
; Kernel info:
; codeLenInByte = 324
; TotalNumSgprs: 11
; NumVgprs: 4
; ScratchSize: 0
; MemoryBound: 0
; FloatMode: 240
; IeeeMode: 1
; LDSByteSize: 1296 bytes/workgroup (compile time only)
; SGPRBlocks: 0
; VGPRBlocks: 0
; NumSGPRsForWavesPerEU: 11
; NumVGPRsForWavesPerEU: 4
; NamedBarCnt: 0
; Occupancy: 16
; WaveLimiterHint : 0
; COMPUTE_PGM_RSRC2:SCRATCH_EN: 0
; COMPUTE_PGM_RSRC2:USER_SGPR: 2
; COMPUTE_PGM_RSRC2:TRAP_HANDLER: 0
; COMPUTE_PGM_RSRC2:TGID_X_EN: 1
; COMPUTE_PGM_RSRC2:TGID_Y_EN: 0
; COMPUTE_PGM_RSRC2:TGID_Z_EN: 0
; COMPUTE_PGM_RSRC2:TIDIG_COMP_CNT: 0
	.section	.text._Z17flag_tails_kernelIxcN10test_utils13greater_equalELj510ELj1EEvPT_Px,"axG",@progbits,_Z17flag_tails_kernelIxcN10test_utils13greater_equalELj510ELj1EEvPT_Px,comdat
	.protected	_Z17flag_tails_kernelIxcN10test_utils13greater_equalELj510ELj1EEvPT_Px ; -- Begin function _Z17flag_tails_kernelIxcN10test_utils13greater_equalELj510ELj1EEvPT_Px
	.globl	_Z17flag_tails_kernelIxcN10test_utils13greater_equalELj510ELj1EEvPT_Px
	.p2align	8
	.type	_Z17flag_tails_kernelIxcN10test_utils13greater_equalELj510ELj1EEvPT_Px,@function
_Z17flag_tails_kernelIxcN10test_utils13greater_equalELj510ELj1EEvPT_Px: ; @_Z17flag_tails_kernelIxcN10test_utils13greater_equalELj510ELj1EEvPT_Px
; %bb.0:
	s_load_b128 s[4:7], s[0:1], 0x0
	s_wait_xcnt 0x0
	s_bfe_u32 s0, ttmp6, 0x4000c
	s_and_b32 s1, ttmp6, 15
	s_add_co_i32 s0, s0, 1
	s_getreg_b32 s2, hwreg(HW_REG_IB_STS2, 6, 4)
	s_mul_i32 s0, ttmp9, s0
	s_mov_b32 s9, 0
	s_add_co_i32 s1, s1, s0
	s_cmp_eq_u32 s2, 0
	v_lshlrev_b32_e32 v1, 3, v0
	s_cselect_b32 s10, ttmp9, s1
	s_delay_alu instid0(SALU_CYCLE_1) | instskip(NEXT) | instid1(SALU_CYCLE_1)
	s_mul_i32 s8, s10, 0x1fe
	s_lshl_b64 s[2:3], s[8:9], 3
	s_bitcmp1_b32 s10, 0
	s_wait_kmcnt 0x0
	s_add_nc_u64 s[0:1], s[4:5], s[2:3]
	global_load_b64 v[2:3], v0, s[0:1] scale_offset
	s_wait_xcnt 0x0
	s_cselect_b32 s0, -1, 0
	s_delay_alu instid0(SALU_CYCLE_1)
	s_and_b32 vcc_lo, exec_lo, s0
	v_cmp_ne_u32_e64 s0, 0x1fd, v0
	s_cbranch_vccz .LBB36_4
; %bb.1:
	s_mov_b32 s1, -1
	s_wait_loadcnt 0x0
	ds_store_b64 v1, v[2:3] offset:4080
	s_wait_dscnt 0x0
	s_barrier_signal -1
	s_barrier_wait -1
	s_and_saveexec_b32 s9, s0
	s_cbranch_execz .LBB36_3
; %bb.2:
	ds_load_b64 v[4:5], v1 offset:4088
	s_wait_dscnt 0x0
	v_cmp_ge_i64_e32 vcc_lo, v[4:5], v[2:3]
	s_or_not1_b32 s1, vcc_lo, exec_lo
.LBB36_3:
	s_or_b32 exec_lo, exec_lo, s9
	s_cbranch_execz .LBB36_5
	s_branch .LBB36_8
.LBB36_4:
                                        ; implicit-def: $sgpr1
.LBB36_5:
	s_add_co_i32 s0, s8, 0x1fe
	s_wait_loadcnt 0x0
	ds_store_b64 v1, v[2:3] offset:4080
	s_load_b64 s[0:1], s[4:5], s0 offset:0x0 scale_offset
	s_wait_dscnt 0x0
	s_barrier_signal -1
	s_barrier_wait -1
	s_wait_kmcnt 0x0
	v_mov_b64_e32 v[4:5], s[0:1]
	s_mov_b32 s0, exec_lo
	v_cmpx_ne_u32_e32 0x1fd, v0
; %bb.6:
	ds_load_b64 v[4:5], v1 offset:4088
; %bb.7:
	s_or_b32 exec_lo, exec_lo, s0
	s_wait_dscnt 0x0
	v_cmp_ge_i64_e64 s1, v[4:5], v[2:3]
.LBB36_8:
	s_mov_b32 s0, 0
	s_wait_loadcnt 0x0
	s_delay_alu instid0(VALU_DEP_1)
	v_cndmask_b32_e64 v2, 0, 1, s1
	v_mov_b32_e32 v3, s0
	s_add_nc_u64 s[0:1], s[6:7], s[2:3]
	global_store_b64 v0, v[2:3], s[0:1] scale_offset
	s_endpgm
	.section	.rodata,"a",@progbits
	.p2align	6, 0x0
	.amdhsa_kernel _Z17flag_tails_kernelIxcN10test_utils13greater_equalELj510ELj1EEvPT_Px
		.amdhsa_group_segment_fixed_size 8160
		.amdhsa_private_segment_fixed_size 0
		.amdhsa_kernarg_size 16
		.amdhsa_user_sgpr_count 2
		.amdhsa_user_sgpr_dispatch_ptr 0
		.amdhsa_user_sgpr_queue_ptr 0
		.amdhsa_user_sgpr_kernarg_segment_ptr 1
		.amdhsa_user_sgpr_dispatch_id 0
		.amdhsa_user_sgpr_kernarg_preload_length 0
		.amdhsa_user_sgpr_kernarg_preload_offset 0
		.amdhsa_user_sgpr_private_segment_size 0
		.amdhsa_wavefront_size32 1
		.amdhsa_uses_dynamic_stack 0
		.amdhsa_enable_private_segment 0
		.amdhsa_system_sgpr_workgroup_id_x 1
		.amdhsa_system_sgpr_workgroup_id_y 0
		.amdhsa_system_sgpr_workgroup_id_z 0
		.amdhsa_system_sgpr_workgroup_info 0
		.amdhsa_system_vgpr_workitem_id 0
		.amdhsa_next_free_vgpr 6
		.amdhsa_next_free_sgpr 11
		.amdhsa_named_barrier_count 0
		.amdhsa_reserve_vcc 1
		.amdhsa_float_round_mode_32 0
		.amdhsa_float_round_mode_16_64 0
		.amdhsa_float_denorm_mode_32 3
		.amdhsa_float_denorm_mode_16_64 3
		.amdhsa_fp16_overflow 0
		.amdhsa_memory_ordered 1
		.amdhsa_forward_progress 1
		.amdhsa_inst_pref_size 3
		.amdhsa_round_robin_scheduling 0
		.amdhsa_exception_fp_ieee_invalid_op 0
		.amdhsa_exception_fp_denorm_src 0
		.amdhsa_exception_fp_ieee_div_zero 0
		.amdhsa_exception_fp_ieee_overflow 0
		.amdhsa_exception_fp_ieee_underflow 0
		.amdhsa_exception_fp_ieee_inexact 0
		.amdhsa_exception_int_div_zero 0
	.end_amdhsa_kernel
	.section	.text._Z17flag_tails_kernelIxcN10test_utils13greater_equalELj510ELj1EEvPT_Px,"axG",@progbits,_Z17flag_tails_kernelIxcN10test_utils13greater_equalELj510ELj1EEvPT_Px,comdat
.Lfunc_end36:
	.size	_Z17flag_tails_kernelIxcN10test_utils13greater_equalELj510ELj1EEvPT_Px, .Lfunc_end36-_Z17flag_tails_kernelIxcN10test_utils13greater_equalELj510ELj1EEvPT_Px
                                        ; -- End function
	.set _Z17flag_tails_kernelIxcN10test_utils13greater_equalELj510ELj1EEvPT_Px.num_vgpr, 6
	.set _Z17flag_tails_kernelIxcN10test_utils13greater_equalELj510ELj1EEvPT_Px.num_agpr, 0
	.set _Z17flag_tails_kernelIxcN10test_utils13greater_equalELj510ELj1EEvPT_Px.numbered_sgpr, 11
	.set _Z17flag_tails_kernelIxcN10test_utils13greater_equalELj510ELj1EEvPT_Px.num_named_barrier, 0
	.set _Z17flag_tails_kernelIxcN10test_utils13greater_equalELj510ELj1EEvPT_Px.private_seg_size, 0
	.set _Z17flag_tails_kernelIxcN10test_utils13greater_equalELj510ELj1EEvPT_Px.uses_vcc, 1
	.set _Z17flag_tails_kernelIxcN10test_utils13greater_equalELj510ELj1EEvPT_Px.uses_flat_scratch, 0
	.set _Z17flag_tails_kernelIxcN10test_utils13greater_equalELj510ELj1EEvPT_Px.has_dyn_sized_stack, 0
	.set _Z17flag_tails_kernelIxcN10test_utils13greater_equalELj510ELj1EEvPT_Px.has_recursion, 0
	.set _Z17flag_tails_kernelIxcN10test_utils13greater_equalELj510ELj1EEvPT_Px.has_indirect_call, 0
	.section	.AMDGPU.csdata,"",@progbits
; Kernel info:
; codeLenInByte = 324
; TotalNumSgprs: 13
; NumVgprs: 6
; ScratchSize: 0
; MemoryBound: 0
; FloatMode: 240
; IeeeMode: 1
; LDSByteSize: 8160 bytes/workgroup (compile time only)
; SGPRBlocks: 0
; VGPRBlocks: 0
; NumSGPRsForWavesPerEU: 13
; NumVGPRsForWavesPerEU: 6
; NamedBarCnt: 0
; Occupancy: 16
; WaveLimiterHint : 0
; COMPUTE_PGM_RSRC2:SCRATCH_EN: 0
; COMPUTE_PGM_RSRC2:USER_SGPR: 2
; COMPUTE_PGM_RSRC2:TRAP_HANDLER: 0
; COMPUTE_PGM_RSRC2:TGID_X_EN: 1
; COMPUTE_PGM_RSRC2:TGID_Y_EN: 0
; COMPUTE_PGM_RSRC2:TGID_Z_EN: 0
; COMPUTE_PGM_RSRC2:TIDIG_COMP_CNT: 0
	.section	.text._Z17flag_tails_kernelI12hip_bfloat16iN10test_utils7greaterELj37ELj1EEvPT_Px,"axG",@progbits,_Z17flag_tails_kernelI12hip_bfloat16iN10test_utils7greaterELj37ELj1EEvPT_Px,comdat
	.protected	_Z17flag_tails_kernelI12hip_bfloat16iN10test_utils7greaterELj37ELj1EEvPT_Px ; -- Begin function _Z17flag_tails_kernelI12hip_bfloat16iN10test_utils7greaterELj37ELj1EEvPT_Px
	.globl	_Z17flag_tails_kernelI12hip_bfloat16iN10test_utils7greaterELj37ELj1EEvPT_Px
	.p2align	8
	.type	_Z17flag_tails_kernelI12hip_bfloat16iN10test_utils7greaterELj37ELj1EEvPT_Px,@function
_Z17flag_tails_kernelI12hip_bfloat16iN10test_utils7greaterELj37ELj1EEvPT_Px: ; @_Z17flag_tails_kernelI12hip_bfloat16iN10test_utils7greaterELj37ELj1EEvPT_Px
; %bb.0:
	s_load_b128 s[4:7], s[0:1], 0x0
	s_wait_xcnt 0x0
	s_bfe_u32 s0, ttmp6, 0x4000c
	s_and_b32 s1, ttmp6, 15
	s_add_co_i32 s0, s0, 1
	s_getreg_b32 s2, hwreg(HW_REG_IB_STS2, 6, 4)
	s_mul_i32 s0, ttmp9, s0
	s_mov_b32 s3, 0
	s_add_co_i32 s1, s1, s0
	s_cmp_eq_u32 s2, 0
	v_lshlrev_b32_e32 v2, 1, v0
	s_cselect_b32 s8, ttmp9, s1
	s_delay_alu instid0(SALU_CYCLE_1) | instskip(NEXT) | instid1(SALU_CYCLE_1)
	s_mul_i32 s2, s8, 37
	s_lshl_b64 s[0:1], s[2:3], 1
	s_bitcmp1_b32 s8, 0
	s_wait_kmcnt 0x0
	s_add_nc_u64 s[0:1], s[4:5], s[0:1]
	global_load_u16 v1, v0, s[0:1] scale_offset
	s_wait_xcnt 0x0
	s_cselect_b32 s0, -1, 0
	s_delay_alu instid0(SALU_CYCLE_1)
	s_and_b32 vcc_lo, exec_lo, s0
	v_cmp_ne_u32_e64 s0, 36, v0
	s_cbranch_vccz .LBB37_4
; %bb.1:
	s_mov_b32 s1, -1
	s_wait_loadcnt 0x0
	ds_store_b16 v2, v1 offset:74
	s_wait_dscnt 0x0
	s_barrier_signal -1
	s_barrier_wait -1
	s_and_saveexec_b32 s8, s0
	s_cbranch_execz .LBB37_3
; %bb.2:
	ds_load_u16 v3, v2 offset:76
	s_wait_dscnt 0x0
	v_dual_lshlrev_b32 v4, 16, v1 :: v_dual_lshlrev_b32 v3, 16, v3
	s_delay_alu instid0(VALU_DEP_1)
	v_cmp_lt_f32_e32 vcc_lo, v4, v3
	s_or_not1_b32 s1, vcc_lo, exec_lo
.LBB37_3:
	s_or_b32 exec_lo, exec_lo, s8
	s_cbranch_execz .LBB37_5
	s_branch .LBB37_8
.LBB37_4:
                                        ; implicit-def: $sgpr1
.LBB37_5:
	s_add_co_i32 s0, s2, 37
	s_wait_loadcnt 0x0
	ds_store_b16 v2, v1 offset:74
	v_mov_b32_e32 v3, s0
	s_mov_b32 s0, exec_lo
	global_load_u16 v3, v3, s[4:5] scale_offset
	s_wait_loadcnt_dscnt 0x0
	s_barrier_signal -1
	s_barrier_wait -1
	v_cmpx_ne_u32_e32 36, v0
; %bb.6:
	ds_load_u16 v3, v2 offset:76
; %bb.7:
	s_or_b32 exec_lo, exec_lo, s0
	s_wait_dscnt 0x0
	v_dual_lshlrev_b32 v2, 16, v3 :: v_dual_lshlrev_b32 v1, 16, v1
	s_delay_alu instid0(VALU_DEP_1)
	v_cmp_lt_f32_e64 s1, v1, v2
.LBB37_8:
	s_mov_b32 s0, 0
	s_delay_alu instid0(VALU_DEP_1) | instskip(SKIP_2) | instid1(SALU_CYCLE_1)
	v_cndmask_b32_e64 v2, 0, 1, s1
	v_mov_b32_e32 v3, s0
	s_lshl_b64 s[0:1], s[2:3], 3
	s_add_nc_u64 s[0:1], s[6:7], s[0:1]
	global_store_b64 v0, v[2:3], s[0:1] scale_offset
	s_endpgm
	.section	.rodata,"a",@progbits
	.p2align	6, 0x0
	.amdhsa_kernel _Z17flag_tails_kernelI12hip_bfloat16iN10test_utils7greaterELj37ELj1EEvPT_Px
		.amdhsa_group_segment_fixed_size 148
		.amdhsa_private_segment_fixed_size 0
		.amdhsa_kernarg_size 16
		.amdhsa_user_sgpr_count 2
		.amdhsa_user_sgpr_dispatch_ptr 0
		.amdhsa_user_sgpr_queue_ptr 0
		.amdhsa_user_sgpr_kernarg_segment_ptr 1
		.amdhsa_user_sgpr_dispatch_id 0
		.amdhsa_user_sgpr_kernarg_preload_length 0
		.amdhsa_user_sgpr_kernarg_preload_offset 0
		.amdhsa_user_sgpr_private_segment_size 0
		.amdhsa_wavefront_size32 1
		.amdhsa_uses_dynamic_stack 0
		.amdhsa_enable_private_segment 0
		.amdhsa_system_sgpr_workgroup_id_x 1
		.amdhsa_system_sgpr_workgroup_id_y 0
		.amdhsa_system_sgpr_workgroup_id_z 0
		.amdhsa_system_sgpr_workgroup_info 0
		.amdhsa_system_vgpr_workitem_id 0
		.amdhsa_next_free_vgpr 5
		.amdhsa_next_free_sgpr 9
		.amdhsa_named_barrier_count 0
		.amdhsa_reserve_vcc 1
		.amdhsa_float_round_mode_32 0
		.amdhsa_float_round_mode_16_64 0
		.amdhsa_float_denorm_mode_32 3
		.amdhsa_float_denorm_mode_16_64 3
		.amdhsa_fp16_overflow 0
		.amdhsa_memory_ordered 1
		.amdhsa_forward_progress 1
		.amdhsa_inst_pref_size 3
		.amdhsa_round_robin_scheduling 0
		.amdhsa_exception_fp_ieee_invalid_op 0
		.amdhsa_exception_fp_denorm_src 0
		.amdhsa_exception_fp_ieee_div_zero 0
		.amdhsa_exception_fp_ieee_overflow 0
		.amdhsa_exception_fp_ieee_underflow 0
		.amdhsa_exception_fp_ieee_inexact 0
		.amdhsa_exception_int_div_zero 0
	.end_amdhsa_kernel
	.section	.text._Z17flag_tails_kernelI12hip_bfloat16iN10test_utils7greaterELj37ELj1EEvPT_Px,"axG",@progbits,_Z17flag_tails_kernelI12hip_bfloat16iN10test_utils7greaterELj37ELj1EEvPT_Px,comdat
.Lfunc_end37:
	.size	_Z17flag_tails_kernelI12hip_bfloat16iN10test_utils7greaterELj37ELj1EEvPT_Px, .Lfunc_end37-_Z17flag_tails_kernelI12hip_bfloat16iN10test_utils7greaterELj37ELj1EEvPT_Px
                                        ; -- End function
	.set _Z17flag_tails_kernelI12hip_bfloat16iN10test_utils7greaterELj37ELj1EEvPT_Px.num_vgpr, 5
	.set _Z17flag_tails_kernelI12hip_bfloat16iN10test_utils7greaterELj37ELj1EEvPT_Px.num_agpr, 0
	.set _Z17flag_tails_kernelI12hip_bfloat16iN10test_utils7greaterELj37ELj1EEvPT_Px.numbered_sgpr, 9
	.set _Z17flag_tails_kernelI12hip_bfloat16iN10test_utils7greaterELj37ELj1EEvPT_Px.num_named_barrier, 0
	.set _Z17flag_tails_kernelI12hip_bfloat16iN10test_utils7greaterELj37ELj1EEvPT_Px.private_seg_size, 0
	.set _Z17flag_tails_kernelI12hip_bfloat16iN10test_utils7greaterELj37ELj1EEvPT_Px.uses_vcc, 1
	.set _Z17flag_tails_kernelI12hip_bfloat16iN10test_utils7greaterELj37ELj1EEvPT_Px.uses_flat_scratch, 0
	.set _Z17flag_tails_kernelI12hip_bfloat16iN10test_utils7greaterELj37ELj1EEvPT_Px.has_dyn_sized_stack, 0
	.set _Z17flag_tails_kernelI12hip_bfloat16iN10test_utils7greaterELj37ELj1EEvPT_Px.has_recursion, 0
	.set _Z17flag_tails_kernelI12hip_bfloat16iN10test_utils7greaterELj37ELj1EEvPT_Px.has_indirect_call, 0
	.section	.AMDGPU.csdata,"",@progbits
; Kernel info:
; codeLenInByte = 340
; TotalNumSgprs: 11
; NumVgprs: 5
; ScratchSize: 0
; MemoryBound: 0
; FloatMode: 240
; IeeeMode: 1
; LDSByteSize: 148 bytes/workgroup (compile time only)
; SGPRBlocks: 0
; VGPRBlocks: 0
; NumSGPRsForWavesPerEU: 11
; NumVGPRsForWavesPerEU: 5
; NamedBarCnt: 0
; Occupancy: 16
; WaveLimiterHint : 0
; COMPUTE_PGM_RSRC2:SCRATCH_EN: 0
; COMPUTE_PGM_RSRC2:USER_SGPR: 2
; COMPUTE_PGM_RSRC2:TRAP_HANDLER: 0
; COMPUTE_PGM_RSRC2:TGID_X_EN: 1
; COMPUTE_PGM_RSRC2:TGID_Y_EN: 0
; COMPUTE_PGM_RSRC2:TGID_Z_EN: 0
; COMPUTE_PGM_RSRC2:TIDIG_COMP_CNT: 0
	.section	.text._Z17flag_tails_kernelI6__halfiN10test_utils7greaterELj37ELj1EEvPT_Px,"axG",@progbits,_Z17flag_tails_kernelI6__halfiN10test_utils7greaterELj37ELj1EEvPT_Px,comdat
	.protected	_Z17flag_tails_kernelI6__halfiN10test_utils7greaterELj37ELj1EEvPT_Px ; -- Begin function _Z17flag_tails_kernelI6__halfiN10test_utils7greaterELj37ELj1EEvPT_Px
	.globl	_Z17flag_tails_kernelI6__halfiN10test_utils7greaterELj37ELj1EEvPT_Px
	.p2align	8
	.type	_Z17flag_tails_kernelI6__halfiN10test_utils7greaterELj37ELj1EEvPT_Px,@function
_Z17flag_tails_kernelI6__halfiN10test_utils7greaterELj37ELj1EEvPT_Px: ; @_Z17flag_tails_kernelI6__halfiN10test_utils7greaterELj37ELj1EEvPT_Px
; %bb.0:
	s_load_b128 s[4:7], s[0:1], 0x0
	s_wait_xcnt 0x0
	s_bfe_u32 s0, ttmp6, 0x4000c
	s_and_b32 s1, ttmp6, 15
	s_add_co_i32 s0, s0, 1
	s_getreg_b32 s2, hwreg(HW_REG_IB_STS2, 6, 4)
	s_mul_i32 s0, ttmp9, s0
	s_mov_b32 s3, 0
	s_add_co_i32 s1, s1, s0
	s_cmp_eq_u32 s2, 0
	v_lshlrev_b32_e32 v2, 1, v0
	s_cselect_b32 s8, ttmp9, s1
	s_delay_alu instid0(SALU_CYCLE_1) | instskip(NEXT) | instid1(SALU_CYCLE_1)
	s_mul_i32 s2, s8, 37
	s_lshl_b64 s[0:1], s[2:3], 1
	s_bitcmp1_b32 s8, 0
	s_wait_kmcnt 0x0
	s_add_nc_u64 s[0:1], s[4:5], s[0:1]
	global_load_u16 v1, v0, s[0:1] scale_offset
	s_wait_xcnt 0x0
	s_cselect_b32 s0, -1, 0
	s_delay_alu instid0(SALU_CYCLE_1)
	s_and_b32 vcc_lo, exec_lo, s0
	v_cmp_ne_u32_e64 s0, 36, v0
	s_cbranch_vccz .LBB38_4
; %bb.1:
	s_mov_b32 s1, -1
	s_wait_loadcnt 0x0
	ds_store_b16 v2, v1 offset:74
	s_wait_dscnt 0x0
	s_barrier_signal -1
	s_barrier_wait -1
	s_and_saveexec_b32 s8, s0
	s_cbranch_execz .LBB38_3
; %bb.2:
	ds_load_u16 v3, v2 offset:76
	s_wait_dscnt 0x0
	v_cmp_gt_f16_e32 vcc_lo, v3, v1
	s_or_not1_b32 s1, vcc_lo, exec_lo
.LBB38_3:
	s_or_b32 exec_lo, exec_lo, s8
	s_cbranch_execz .LBB38_5
	s_branch .LBB38_8
.LBB38_4:
                                        ; implicit-def: $sgpr1
.LBB38_5:
	s_add_co_i32 s0, s2, 37
	s_wait_loadcnt 0x0
	ds_store_b16 v2, v1 offset:74
	v_mov_b32_e32 v3, s0
	s_mov_b32 s0, exec_lo
	global_load_u16 v3, v3, s[4:5] scale_offset
	s_wait_loadcnt_dscnt 0x0
	s_barrier_signal -1
	s_barrier_wait -1
	v_cmpx_ne_u32_e32 36, v0
; %bb.6:
	ds_load_u16 v3, v2 offset:76
; %bb.7:
	s_or_b32 exec_lo, exec_lo, s0
	s_wait_dscnt 0x0
	v_cmp_gt_f16_e64 s1, v3, v1
.LBB38_8:
	s_mov_b32 s0, 0
	s_delay_alu instid0(VALU_DEP_1) | instskip(SKIP_2) | instid1(SALU_CYCLE_1)
	v_cndmask_b32_e64 v2, 0, 1, s1
	v_mov_b32_e32 v3, s0
	s_lshl_b64 s[0:1], s[2:3], 3
	s_add_nc_u64 s[0:1], s[6:7], s[0:1]
	global_store_b64 v0, v[2:3], s[0:1] scale_offset
	s_endpgm
	.section	.rodata,"a",@progbits
	.p2align	6, 0x0
	.amdhsa_kernel _Z17flag_tails_kernelI6__halfiN10test_utils7greaterELj37ELj1EEvPT_Px
		.amdhsa_group_segment_fixed_size 148
		.amdhsa_private_segment_fixed_size 0
		.amdhsa_kernarg_size 16
		.amdhsa_user_sgpr_count 2
		.amdhsa_user_sgpr_dispatch_ptr 0
		.amdhsa_user_sgpr_queue_ptr 0
		.amdhsa_user_sgpr_kernarg_segment_ptr 1
		.amdhsa_user_sgpr_dispatch_id 0
		.amdhsa_user_sgpr_kernarg_preload_length 0
		.amdhsa_user_sgpr_kernarg_preload_offset 0
		.amdhsa_user_sgpr_private_segment_size 0
		.amdhsa_wavefront_size32 1
		.amdhsa_uses_dynamic_stack 0
		.amdhsa_enable_private_segment 0
		.amdhsa_system_sgpr_workgroup_id_x 1
		.amdhsa_system_sgpr_workgroup_id_y 0
		.amdhsa_system_sgpr_workgroup_id_z 0
		.amdhsa_system_sgpr_workgroup_info 0
		.amdhsa_system_vgpr_workitem_id 0
		.amdhsa_next_free_vgpr 4
		.amdhsa_next_free_sgpr 9
		.amdhsa_named_barrier_count 0
		.amdhsa_reserve_vcc 1
		.amdhsa_float_round_mode_32 0
		.amdhsa_float_round_mode_16_64 0
		.amdhsa_float_denorm_mode_32 3
		.amdhsa_float_denorm_mode_16_64 3
		.amdhsa_fp16_overflow 0
		.amdhsa_memory_ordered 1
		.amdhsa_forward_progress 1
		.amdhsa_inst_pref_size 3
		.amdhsa_round_robin_scheduling 0
		.amdhsa_exception_fp_ieee_invalid_op 0
		.amdhsa_exception_fp_denorm_src 0
		.amdhsa_exception_fp_ieee_div_zero 0
		.amdhsa_exception_fp_ieee_overflow 0
		.amdhsa_exception_fp_ieee_underflow 0
		.amdhsa_exception_fp_ieee_inexact 0
		.amdhsa_exception_int_div_zero 0
	.end_amdhsa_kernel
	.section	.text._Z17flag_tails_kernelI6__halfiN10test_utils7greaterELj37ELj1EEvPT_Px,"axG",@progbits,_Z17flag_tails_kernelI6__halfiN10test_utils7greaterELj37ELj1EEvPT_Px,comdat
.Lfunc_end38:
	.size	_Z17flag_tails_kernelI6__halfiN10test_utils7greaterELj37ELj1EEvPT_Px, .Lfunc_end38-_Z17flag_tails_kernelI6__halfiN10test_utils7greaterELj37ELj1EEvPT_Px
                                        ; -- End function
	.set _Z17flag_tails_kernelI6__halfiN10test_utils7greaterELj37ELj1EEvPT_Px.num_vgpr, 4
	.set _Z17flag_tails_kernelI6__halfiN10test_utils7greaterELj37ELj1EEvPT_Px.num_agpr, 0
	.set _Z17flag_tails_kernelI6__halfiN10test_utils7greaterELj37ELj1EEvPT_Px.numbered_sgpr, 9
	.set _Z17flag_tails_kernelI6__halfiN10test_utils7greaterELj37ELj1EEvPT_Px.num_named_barrier, 0
	.set _Z17flag_tails_kernelI6__halfiN10test_utils7greaterELj37ELj1EEvPT_Px.private_seg_size, 0
	.set _Z17flag_tails_kernelI6__halfiN10test_utils7greaterELj37ELj1EEvPT_Px.uses_vcc, 1
	.set _Z17flag_tails_kernelI6__halfiN10test_utils7greaterELj37ELj1EEvPT_Px.uses_flat_scratch, 0
	.set _Z17flag_tails_kernelI6__halfiN10test_utils7greaterELj37ELj1EEvPT_Px.has_dyn_sized_stack, 0
	.set _Z17flag_tails_kernelI6__halfiN10test_utils7greaterELj37ELj1EEvPT_Px.has_recursion, 0
	.set _Z17flag_tails_kernelI6__halfiN10test_utils7greaterELj37ELj1EEvPT_Px.has_indirect_call, 0
	.section	.AMDGPU.csdata,"",@progbits
; Kernel info:
; codeLenInByte = 308
; TotalNumSgprs: 11
; NumVgprs: 4
; ScratchSize: 0
; MemoryBound: 0
; FloatMode: 240
; IeeeMode: 1
; LDSByteSize: 148 bytes/workgroup (compile time only)
; SGPRBlocks: 0
; VGPRBlocks: 0
; NumSGPRsForWavesPerEU: 11
; NumVGPRsForWavesPerEU: 4
; NamedBarCnt: 0
; Occupancy: 16
; WaveLimiterHint : 0
; COMPUTE_PGM_RSRC2:SCRATCH_EN: 0
; COMPUTE_PGM_RSRC2:USER_SGPR: 2
; COMPUTE_PGM_RSRC2:TRAP_HANDLER: 0
; COMPUTE_PGM_RSRC2:TGID_X_EN: 1
; COMPUTE_PGM_RSRC2:TGID_Y_EN: 0
; COMPUTE_PGM_RSRC2:TGID_Z_EN: 0
; COMPUTE_PGM_RSRC2:TIDIG_COMP_CNT: 0
	.section	.text._Z17flag_tails_kernelIfi15custom_flag_op1IfELj37ELj1EEvPT_Px,"axG",@progbits,_Z17flag_tails_kernelIfi15custom_flag_op1IfELj37ELj1EEvPT_Px,comdat
	.protected	_Z17flag_tails_kernelIfi15custom_flag_op1IfELj37ELj1EEvPT_Px ; -- Begin function _Z17flag_tails_kernelIfi15custom_flag_op1IfELj37ELj1EEvPT_Px
	.globl	_Z17flag_tails_kernelIfi15custom_flag_op1IfELj37ELj1EEvPT_Px
	.p2align	8
	.type	_Z17flag_tails_kernelIfi15custom_flag_op1IfELj37ELj1EEvPT_Px,@function
_Z17flag_tails_kernelIfi15custom_flag_op1IfELj37ELj1EEvPT_Px: ; @_Z17flag_tails_kernelIfi15custom_flag_op1IfELj37ELj1EEvPT_Px
; %bb.0:
	s_load_b128 s[4:7], s[0:1], 0x0
	s_wait_xcnt 0x0
	s_bfe_u32 s0, ttmp6, 0x4000c
	s_and_b32 s1, ttmp6, 15
	s_add_co_i32 s0, s0, 1
	s_getreg_b32 s2, hwreg(HW_REG_IB_STS2, 6, 4)
	s_mul_i32 s0, ttmp9, s0
	s_mov_b32 s3, 0
	s_add_co_i32 s1, s1, s0
	s_cmp_eq_u32 s2, 0
	v_lshlrev_b32_e32 v2, 2, v0
	s_cselect_b32 s8, ttmp9, s1
	s_delay_alu instid0(SALU_CYCLE_1) | instskip(NEXT) | instid1(SALU_CYCLE_1)
	s_mul_i32 s2, s8, 37
	s_lshl_b64 s[0:1], s[2:3], 2
	s_bitcmp1_b32 s8, 0
	s_wait_kmcnt 0x0
	s_add_nc_u64 s[0:1], s[4:5], s[0:1]
	global_load_b32 v1, v0, s[0:1] scale_offset
	s_wait_xcnt 0x0
	s_cselect_b32 s0, -1, 0
	s_delay_alu instid0(SALU_CYCLE_1)
	s_and_b32 vcc_lo, exec_lo, s0
	v_cmp_ne_u32_e64 s0, 36, v0
	s_cbranch_vccz .LBB39_6
; %bb.1:
	s_mov_b32 s1, -1
	s_wait_loadcnt 0x0
	ds_store_b32 v2, v1 offset:148
	s_wait_dscnt 0x0
	s_barrier_signal -1
	s_barrier_wait -1
	s_and_saveexec_b32 s8, s0
	s_cbranch_execz .LBB39_5
; %bb.2:
	ds_load_b32 v3, v2 offset:152
	s_mov_b32 s0, exec_lo
	s_wait_dscnt 0x0
	v_cmpx_neq_f32_e32 v3, v1
; %bb.3:
	v_mad_u16 v3, 0xcccd, v0, 0xcccd
	s_delay_alu instid0(VALU_DEP_1) | instskip(SKIP_1) | instid1(VALU_DEP_1)
	v_lshlrev_b16 v4, 15, v3
	v_lshrrev_b16 v3, 1, v3
	v_or_b32_e32 v3, v3, v4
	s_delay_alu instid0(VALU_DEP_1)
	v_cmp_gt_u16_e32 vcc_lo, 0x199a, v3
	s_or_not1_b32 s1, vcc_lo, exec_lo
; %bb.4:
	s_or_b32 exec_lo, exec_lo, s0
	s_delay_alu instid0(SALU_CYCLE_1)
	s_or_not1_b32 s1, s1, exec_lo
.LBB39_5:
	s_or_b32 exec_lo, exec_lo, s8
	s_cbranch_execz .LBB39_7
	s_branch .LBB39_12
.LBB39_6:
                                        ; implicit-def: $sgpr1
.LBB39_7:
	s_add_co_i32 s0, s2, 37
	s_wait_loadcnt 0x0
	ds_store_b32 v2, v1 offset:148
	s_load_b32 s0, s[4:5], s0 offset:0x0 scale_offset
	s_wait_dscnt 0x0
	s_barrier_signal -1
	s_barrier_wait -1
	s_wait_kmcnt 0x0
	v_mov_b32_e32 v3, s0
	s_mov_b32 s0, exec_lo
	v_cmpx_ne_u32_e32 36, v0
; %bb.8:
	ds_load_b32 v3, v2 offset:152
; %bb.9:
	s_or_b32 exec_lo, exec_lo, s0
	s_mov_b32 s1, -1
	s_mov_b32 s0, exec_lo
	s_wait_dscnt 0x0
	v_cmpx_neq_f32_e32 v3, v1
; %bb.10:
	v_mad_u16 v1, 0xcccd, v0, 0xcccd
	s_delay_alu instid0(VALU_DEP_1) | instskip(SKIP_1) | instid1(VALU_DEP_1)
	v_lshlrev_b16 v2, 15, v1
	v_lshrrev_b16 v1, 1, v1
	v_or_b32_e32 v1, v1, v2
	s_delay_alu instid0(VALU_DEP_1)
	v_cmp_gt_u16_e32 vcc_lo, 0x199a, v1
	s_or_not1_b32 s1, vcc_lo, exec_lo
; %bb.11:
	s_or_b32 exec_lo, exec_lo, s0
.LBB39_12:
	s_mov_b32 s0, 0
	v_cndmask_b32_e64 v2, 0, 1, s1
	v_mov_b32_e32 v3, s0
	s_lshl_b64 s[0:1], s[2:3], 3
	s_delay_alu instid0(SALU_CYCLE_1)
	s_add_nc_u64 s[0:1], s[6:7], s[0:1]
	global_store_b64 v0, v[2:3], s[0:1] scale_offset
	s_endpgm
	.section	.rodata,"a",@progbits
	.p2align	6, 0x0
	.amdhsa_kernel _Z17flag_tails_kernelIfi15custom_flag_op1IfELj37ELj1EEvPT_Px
		.amdhsa_group_segment_fixed_size 296
		.amdhsa_private_segment_fixed_size 0
		.amdhsa_kernarg_size 16
		.amdhsa_user_sgpr_count 2
		.amdhsa_user_sgpr_dispatch_ptr 0
		.amdhsa_user_sgpr_queue_ptr 0
		.amdhsa_user_sgpr_kernarg_segment_ptr 1
		.amdhsa_user_sgpr_dispatch_id 0
		.amdhsa_user_sgpr_kernarg_preload_length 0
		.amdhsa_user_sgpr_kernarg_preload_offset 0
		.amdhsa_user_sgpr_private_segment_size 0
		.amdhsa_wavefront_size32 1
		.amdhsa_uses_dynamic_stack 0
		.amdhsa_enable_private_segment 0
		.amdhsa_system_sgpr_workgroup_id_x 1
		.amdhsa_system_sgpr_workgroup_id_y 0
		.amdhsa_system_sgpr_workgroup_id_z 0
		.amdhsa_system_sgpr_workgroup_info 0
		.amdhsa_system_vgpr_workitem_id 0
		.amdhsa_next_free_vgpr 5
		.amdhsa_next_free_sgpr 9
		.amdhsa_named_barrier_count 0
		.amdhsa_reserve_vcc 1
		.amdhsa_float_round_mode_32 0
		.amdhsa_float_round_mode_16_64 0
		.amdhsa_float_denorm_mode_32 3
		.amdhsa_float_denorm_mode_16_64 3
		.amdhsa_fp16_overflow 0
		.amdhsa_memory_ordered 1
		.amdhsa_forward_progress 1
		.amdhsa_inst_pref_size 4
		.amdhsa_round_robin_scheduling 0
		.amdhsa_exception_fp_ieee_invalid_op 0
		.amdhsa_exception_fp_denorm_src 0
		.amdhsa_exception_fp_ieee_div_zero 0
		.amdhsa_exception_fp_ieee_overflow 0
		.amdhsa_exception_fp_ieee_underflow 0
		.amdhsa_exception_fp_ieee_inexact 0
		.amdhsa_exception_int_div_zero 0
	.end_amdhsa_kernel
	.section	.text._Z17flag_tails_kernelIfi15custom_flag_op1IfELj37ELj1EEvPT_Px,"axG",@progbits,_Z17flag_tails_kernelIfi15custom_flag_op1IfELj37ELj1EEvPT_Px,comdat
.Lfunc_end39:
	.size	_Z17flag_tails_kernelIfi15custom_flag_op1IfELj37ELj1EEvPT_Px, .Lfunc_end39-_Z17flag_tails_kernelIfi15custom_flag_op1IfELj37ELj1EEvPT_Px
                                        ; -- End function
	.set _Z17flag_tails_kernelIfi15custom_flag_op1IfELj37ELj1EEvPT_Px.num_vgpr, 5
	.set _Z17flag_tails_kernelIfi15custom_flag_op1IfELj37ELj1EEvPT_Px.num_agpr, 0
	.set _Z17flag_tails_kernelIfi15custom_flag_op1IfELj37ELj1EEvPT_Px.numbered_sgpr, 9
	.set _Z17flag_tails_kernelIfi15custom_flag_op1IfELj37ELj1EEvPT_Px.num_named_barrier, 0
	.set _Z17flag_tails_kernelIfi15custom_flag_op1IfELj37ELj1EEvPT_Px.private_seg_size, 0
	.set _Z17flag_tails_kernelIfi15custom_flag_op1IfELj37ELj1EEvPT_Px.uses_vcc, 1
	.set _Z17flag_tails_kernelIfi15custom_flag_op1IfELj37ELj1EEvPT_Px.uses_flat_scratch, 0
	.set _Z17flag_tails_kernelIfi15custom_flag_op1IfELj37ELj1EEvPT_Px.has_dyn_sized_stack, 0
	.set _Z17flag_tails_kernelIfi15custom_flag_op1IfELj37ELj1EEvPT_Px.has_recursion, 0
	.set _Z17flag_tails_kernelIfi15custom_flag_op1IfELj37ELj1EEvPT_Px.has_indirect_call, 0
	.section	.AMDGPU.csdata,"",@progbits
; Kernel info:
; codeLenInByte = 432
; TotalNumSgprs: 11
; NumVgprs: 5
; ScratchSize: 0
; MemoryBound: 0
; FloatMode: 240
; IeeeMode: 1
; LDSByteSize: 296 bytes/workgroup (compile time only)
; SGPRBlocks: 0
; VGPRBlocks: 0
; NumSGPRsForWavesPerEU: 11
; NumVGPRsForWavesPerEU: 5
; NamedBarCnt: 0
; Occupancy: 16
; WaveLimiterHint : 0
; COMPUTE_PGM_RSRC2:SCRATCH_EN: 0
; COMPUTE_PGM_RSRC2:USER_SGPR: 2
; COMPUTE_PGM_RSRC2:TRAP_HANDLER: 0
; COMPUTE_PGM_RSRC2:TGID_X_EN: 1
; COMPUTE_PGM_RSRC2:TGID_Y_EN: 0
; COMPUTE_PGM_RSRC2:TGID_Z_EN: 0
; COMPUTE_PGM_RSRC2:TIDIG_COMP_CNT: 0
	.section	.text._Z17flag_tails_kernelIdjN10test_utils7greaterELj65ELj1EEvPT_Px,"axG",@progbits,_Z17flag_tails_kernelIdjN10test_utils7greaterELj65ELj1EEvPT_Px,comdat
	.protected	_Z17flag_tails_kernelIdjN10test_utils7greaterELj65ELj1EEvPT_Px ; -- Begin function _Z17flag_tails_kernelIdjN10test_utils7greaterELj65ELj1EEvPT_Px
	.globl	_Z17flag_tails_kernelIdjN10test_utils7greaterELj65ELj1EEvPT_Px
	.p2align	8
	.type	_Z17flag_tails_kernelIdjN10test_utils7greaterELj65ELj1EEvPT_Px,@function
_Z17flag_tails_kernelIdjN10test_utils7greaterELj65ELj1EEvPT_Px: ; @_Z17flag_tails_kernelIdjN10test_utils7greaterELj65ELj1EEvPT_Px
; %bb.0:
	s_load_b128 s[4:7], s[0:1], 0x0
	s_wait_xcnt 0x0
	s_bfe_u32 s0, ttmp6, 0x4000c
	s_and_b32 s1, ttmp6, 15
	s_add_co_i32 s0, s0, 1
	s_getreg_b32 s2, hwreg(HW_REG_IB_STS2, 6, 4)
	s_mul_i32 s0, ttmp9, s0
	s_mov_b32 s9, 0
	s_add_co_i32 s1, s1, s0
	s_cmp_eq_u32 s2, 0
	v_lshlrev_b32_e32 v1, 3, v0
	s_cselect_b32 s10, ttmp9, s1
	s_delay_alu instid0(SALU_CYCLE_1) | instskip(NEXT) | instid1(SALU_CYCLE_1)
	s_mul_i32 s8, s10, 0x41
	s_lshl_b64 s[2:3], s[8:9], 3
	s_bitcmp1_b32 s10, 0
	s_wait_kmcnt 0x0
	s_add_nc_u64 s[0:1], s[4:5], s[2:3]
	global_load_b64 v[2:3], v0, s[0:1] scale_offset
	s_wait_xcnt 0x0
	s_cselect_b32 s0, -1, 0
	s_delay_alu instid0(SALU_CYCLE_1)
	s_and_b32 vcc_lo, exec_lo, s0
	v_cmp_ne_u32_e64 s0, 64, v0
	s_cbranch_vccz .LBB40_4
; %bb.1:
	s_mov_b32 s1, -1
	s_wait_loadcnt 0x0
	ds_store_b64 v1, v[2:3] offset:520
	s_wait_dscnt 0x0
	s_barrier_signal -1
	s_barrier_wait -1
	s_and_saveexec_b32 s9, s0
	s_cbranch_execz .LBB40_3
; %bb.2:
	ds_load_b64 v[4:5], v1 offset:528
	s_wait_dscnt 0x0
	v_cmp_gt_f64_e32 vcc_lo, v[4:5], v[2:3]
	s_or_not1_b32 s1, vcc_lo, exec_lo
.LBB40_3:
	s_or_b32 exec_lo, exec_lo, s9
	s_cbranch_execz .LBB40_5
	s_branch .LBB40_8
.LBB40_4:
                                        ; implicit-def: $sgpr1
.LBB40_5:
	s_add_co_i32 s0, s8, 0x41
	s_wait_loadcnt 0x0
	ds_store_b64 v1, v[2:3] offset:520
	s_load_b64 s[0:1], s[4:5], s0 offset:0x0 scale_offset
	s_wait_dscnt 0x0
	s_barrier_signal -1
	s_barrier_wait -1
	s_wait_kmcnt 0x0
	v_mov_b64_e32 v[4:5], s[0:1]
	s_mov_b32 s0, exec_lo
	v_cmpx_ne_u32_e32 64, v0
; %bb.6:
	ds_load_b64 v[4:5], v1 offset:528
; %bb.7:
	s_or_b32 exec_lo, exec_lo, s0
	s_wait_dscnt 0x0
	v_cmp_gt_f64_e64 s1, v[4:5], v[2:3]
.LBB40_8:
	s_mov_b32 s0, 0
	s_wait_loadcnt 0x0
	s_delay_alu instid0(VALU_DEP_1)
	v_cndmask_b32_e64 v2, 0, 1, s1
	v_mov_b32_e32 v3, s0
	s_add_nc_u64 s[0:1], s[6:7], s[2:3]
	global_store_b64 v0, v[2:3], s[0:1] scale_offset
	s_endpgm
	.section	.rodata,"a",@progbits
	.p2align	6, 0x0
	.amdhsa_kernel _Z17flag_tails_kernelIdjN10test_utils7greaterELj65ELj1EEvPT_Px
		.amdhsa_group_segment_fixed_size 1040
		.amdhsa_private_segment_fixed_size 0
		.amdhsa_kernarg_size 16
		.amdhsa_user_sgpr_count 2
		.amdhsa_user_sgpr_dispatch_ptr 0
		.amdhsa_user_sgpr_queue_ptr 0
		.amdhsa_user_sgpr_kernarg_segment_ptr 1
		.amdhsa_user_sgpr_dispatch_id 0
		.amdhsa_user_sgpr_kernarg_preload_length 0
		.amdhsa_user_sgpr_kernarg_preload_offset 0
		.amdhsa_user_sgpr_private_segment_size 0
		.amdhsa_wavefront_size32 1
		.amdhsa_uses_dynamic_stack 0
		.amdhsa_enable_private_segment 0
		.amdhsa_system_sgpr_workgroup_id_x 1
		.amdhsa_system_sgpr_workgroup_id_y 0
		.amdhsa_system_sgpr_workgroup_id_z 0
		.amdhsa_system_sgpr_workgroup_info 0
		.amdhsa_system_vgpr_workitem_id 0
		.amdhsa_next_free_vgpr 6
		.amdhsa_next_free_sgpr 11
		.amdhsa_named_barrier_count 0
		.amdhsa_reserve_vcc 1
		.amdhsa_float_round_mode_32 0
		.amdhsa_float_round_mode_16_64 0
		.amdhsa_float_denorm_mode_32 3
		.amdhsa_float_denorm_mode_16_64 3
		.amdhsa_fp16_overflow 0
		.amdhsa_memory_ordered 1
		.amdhsa_forward_progress 1
		.amdhsa_inst_pref_size 3
		.amdhsa_round_robin_scheduling 0
		.amdhsa_exception_fp_ieee_invalid_op 0
		.amdhsa_exception_fp_denorm_src 0
		.amdhsa_exception_fp_ieee_div_zero 0
		.amdhsa_exception_fp_ieee_overflow 0
		.amdhsa_exception_fp_ieee_underflow 0
		.amdhsa_exception_fp_ieee_inexact 0
		.amdhsa_exception_int_div_zero 0
	.end_amdhsa_kernel
	.section	.text._Z17flag_tails_kernelIdjN10test_utils7greaterELj65ELj1EEvPT_Px,"axG",@progbits,_Z17flag_tails_kernelIdjN10test_utils7greaterELj65ELj1EEvPT_Px,comdat
.Lfunc_end40:
	.size	_Z17flag_tails_kernelIdjN10test_utils7greaterELj65ELj1EEvPT_Px, .Lfunc_end40-_Z17flag_tails_kernelIdjN10test_utils7greaterELj65ELj1EEvPT_Px
                                        ; -- End function
	.set _Z17flag_tails_kernelIdjN10test_utils7greaterELj65ELj1EEvPT_Px.num_vgpr, 6
	.set _Z17flag_tails_kernelIdjN10test_utils7greaterELj65ELj1EEvPT_Px.num_agpr, 0
	.set _Z17flag_tails_kernelIdjN10test_utils7greaterELj65ELj1EEvPT_Px.numbered_sgpr, 11
	.set _Z17flag_tails_kernelIdjN10test_utils7greaterELj65ELj1EEvPT_Px.num_named_barrier, 0
	.set _Z17flag_tails_kernelIdjN10test_utils7greaterELj65ELj1EEvPT_Px.private_seg_size, 0
	.set _Z17flag_tails_kernelIdjN10test_utils7greaterELj65ELj1EEvPT_Px.uses_vcc, 1
	.set _Z17flag_tails_kernelIdjN10test_utils7greaterELj65ELj1EEvPT_Px.uses_flat_scratch, 0
	.set _Z17flag_tails_kernelIdjN10test_utils7greaterELj65ELj1EEvPT_Px.has_dyn_sized_stack, 0
	.set _Z17flag_tails_kernelIdjN10test_utils7greaterELj65ELj1EEvPT_Px.has_recursion, 0
	.set _Z17flag_tails_kernelIdjN10test_utils7greaterELj65ELj1EEvPT_Px.has_indirect_call, 0
	.section	.AMDGPU.csdata,"",@progbits
; Kernel info:
; codeLenInByte = 316
; TotalNumSgprs: 13
; NumVgprs: 6
; ScratchSize: 0
; MemoryBound: 0
; FloatMode: 240
; IeeeMode: 1
; LDSByteSize: 1040 bytes/workgroup (compile time only)
; SGPRBlocks: 0
; VGPRBlocks: 0
; NumSGPRsForWavesPerEU: 13
; NumVGPRsForWavesPerEU: 6
; NamedBarCnt: 0
; Occupancy: 16
; WaveLimiterHint : 0
; COMPUTE_PGM_RSRC2:SCRATCH_EN: 0
; COMPUTE_PGM_RSRC2:USER_SGPR: 2
; COMPUTE_PGM_RSRC2:TRAP_HANDLER: 0
; COMPUTE_PGM_RSRC2:TGID_X_EN: 1
; COMPUTE_PGM_RSRC2:TGID_Y_EN: 0
; COMPUTE_PGM_RSRC2:TGID_Z_EN: 0
; COMPUTE_PGM_RSRC2:TIDIG_COMP_CNT: 0
	.section	.text._Z17flag_tails_kernelIib15custom_flag_op1IiELj256ELj1EEvPT_Px,"axG",@progbits,_Z17flag_tails_kernelIib15custom_flag_op1IiELj256ELj1EEvPT_Px,comdat
	.protected	_Z17flag_tails_kernelIib15custom_flag_op1IiELj256ELj1EEvPT_Px ; -- Begin function _Z17flag_tails_kernelIib15custom_flag_op1IiELj256ELj1EEvPT_Px
	.globl	_Z17flag_tails_kernelIib15custom_flag_op1IiELj256ELj1EEvPT_Px
	.p2align	8
	.type	_Z17flag_tails_kernelIib15custom_flag_op1IiELj256ELj1EEvPT_Px,@function
_Z17flag_tails_kernelIib15custom_flag_op1IiELj256ELj1EEvPT_Px: ; @_Z17flag_tails_kernelIib15custom_flag_op1IiELj256ELj1EEvPT_Px
; %bb.0:
	s_load_b128 s[0:3], s[0:1], 0x0
	s_bfe_u32 s4, ttmp6, 0x4000c
	s_and_b32 s5, ttmp6, 15
	s_add_co_i32 s4, s4, 1
	s_getreg_b32 s6, hwreg(HW_REG_IB_STS2, 6, 4)
	s_mul_i32 s4, ttmp9, s4
	v_lshlrev_b32_e32 v2, 2, v0
	s_add_co_i32 s5, s5, s4
	s_cmp_eq_u32 s6, 0
	s_cselect_b32 s8, ttmp9, s5
	s_mov_b32 s5, 0
	s_lshl_b32 s4, s8, 8
	s_delay_alu instid0(SALU_CYCLE_1)
	s_lshl_b64 s[6:7], s[4:5], 2
	s_bitcmp1_b32 s8, 0
	s_wait_kmcnt 0x0
	s_add_nc_u64 s[6:7], s[0:1], s[6:7]
	s_cselect_b32 s0, -1, 0
	global_load_b32 v1, v0, s[6:7] scale_offset
	s_and_b32 vcc_lo, exec_lo, s0
	v_cmp_ne_u32_e64 s0, 0xff, v0
	s_cbranch_vccz .LBB41_6
; %bb.1:
	s_mov_b32 s1, -1
	s_wait_loadcnt 0x0
	ds_store_b32 v2, v1 offset:1024
	s_wait_dscnt 0x0
	s_barrier_signal -1
	s_barrier_wait -1
	s_and_saveexec_b32 s8, s0
	s_cbranch_execz .LBB41_5
; %bb.2:
	ds_load_b32 v3, v2 offset:1028
	s_mov_b32 s0, exec_lo
	s_wait_dscnt 0x0
	v_cmpx_ne_u32_e64 v3, v1
; %bb.3:
	v_mad_u16 v3, 0xcccd, v0, 0xcccd
	s_delay_alu instid0(VALU_DEP_1) | instskip(SKIP_1) | instid1(VALU_DEP_1)
	v_lshlrev_b16 v4, 15, v3
	v_lshrrev_b16 v3, 1, v3
	v_or_b32_e32 v3, v3, v4
	s_delay_alu instid0(VALU_DEP_1)
	v_cmp_gt_u16_e32 vcc_lo, 0x199a, v3
	s_or_not1_b32 s1, vcc_lo, exec_lo
; %bb.4:
	s_or_b32 exec_lo, exec_lo, s0
	s_delay_alu instid0(SALU_CYCLE_1)
	s_or_not1_b32 s1, s1, exec_lo
.LBB41_5:
	s_or_b32 exec_lo, exec_lo, s8
	s_cbranch_execz .LBB41_7
	s_branch .LBB41_12
.LBB41_6:
                                        ; implicit-def: $sgpr1
.LBB41_7:
	s_load_b32 s0, s[6:7], 0x400
	s_wait_loadcnt 0x0
	ds_store_b32 v2, v1 offset:1024
	s_wait_dscnt 0x0
	s_barrier_signal -1
	s_barrier_wait -1
	s_wait_kmcnt 0x0
	v_mov_b32_e32 v3, s0
	s_mov_b32 s0, exec_lo
	v_cmpx_ne_u32_e32 0xff, v0
; %bb.8:
	ds_load_b32 v3, v2 offset:1028
; %bb.9:
	s_or_b32 exec_lo, exec_lo, s0
	s_mov_b32 s1, -1
	s_mov_b32 s0, exec_lo
	s_wait_dscnt 0x0
	v_cmpx_ne_u32_e64 v3, v1
; %bb.10:
	v_mad_u16 v1, 0xcccd, v0, 0xcccd
	s_delay_alu instid0(VALU_DEP_1) | instskip(SKIP_1) | instid1(VALU_DEP_1)
	v_lshlrev_b16 v2, 15, v1
	v_lshrrev_b16 v1, 1, v1
	v_or_b32_e32 v1, v1, v2
	s_delay_alu instid0(VALU_DEP_1)
	v_cmp_gt_u16_e32 vcc_lo, 0x199a, v1
	s_or_not1_b32 s1, vcc_lo, exec_lo
; %bb.11:
	s_or_b32 exec_lo, exec_lo, s0
.LBB41_12:
	s_mov_b32 s0, 0
	v_cndmask_b32_e64 v2, 0, 1, s1
	v_mov_b32_e32 v3, s0
	s_lshl_b64 s[0:1], s[4:5], 3
	s_delay_alu instid0(SALU_CYCLE_1)
	s_add_nc_u64 s[0:1], s[2:3], s[0:1]
	global_store_b64 v0, v[2:3], s[0:1] scale_offset
	s_endpgm
	.section	.rodata,"a",@progbits
	.p2align	6, 0x0
	.amdhsa_kernel _Z17flag_tails_kernelIib15custom_flag_op1IiELj256ELj1EEvPT_Px
		.amdhsa_group_segment_fixed_size 2048
		.amdhsa_private_segment_fixed_size 0
		.amdhsa_kernarg_size 16
		.amdhsa_user_sgpr_count 2
		.amdhsa_user_sgpr_dispatch_ptr 0
		.amdhsa_user_sgpr_queue_ptr 0
		.amdhsa_user_sgpr_kernarg_segment_ptr 1
		.amdhsa_user_sgpr_dispatch_id 0
		.amdhsa_user_sgpr_kernarg_preload_length 0
		.amdhsa_user_sgpr_kernarg_preload_offset 0
		.amdhsa_user_sgpr_private_segment_size 0
		.amdhsa_wavefront_size32 1
		.amdhsa_uses_dynamic_stack 0
		.amdhsa_enable_private_segment 0
		.amdhsa_system_sgpr_workgroup_id_x 1
		.amdhsa_system_sgpr_workgroup_id_y 0
		.amdhsa_system_sgpr_workgroup_id_z 0
		.amdhsa_system_sgpr_workgroup_info 0
		.amdhsa_system_vgpr_workitem_id 0
		.amdhsa_next_free_vgpr 5
		.amdhsa_next_free_sgpr 9
		.amdhsa_named_barrier_count 0
		.amdhsa_reserve_vcc 1
		.amdhsa_float_round_mode_32 0
		.amdhsa_float_round_mode_16_64 0
		.amdhsa_float_denorm_mode_32 3
		.amdhsa_float_denorm_mode_16_64 3
		.amdhsa_fp16_overflow 0
		.amdhsa_memory_ordered 1
		.amdhsa_forward_progress 1
		.amdhsa_inst_pref_size 4
		.amdhsa_round_robin_scheduling 0
		.amdhsa_exception_fp_ieee_invalid_op 0
		.amdhsa_exception_fp_denorm_src 0
		.amdhsa_exception_fp_ieee_div_zero 0
		.amdhsa_exception_fp_ieee_overflow 0
		.amdhsa_exception_fp_ieee_underflow 0
		.amdhsa_exception_fp_ieee_inexact 0
		.amdhsa_exception_int_div_zero 0
	.end_amdhsa_kernel
	.section	.text._Z17flag_tails_kernelIib15custom_flag_op1IiELj256ELj1EEvPT_Px,"axG",@progbits,_Z17flag_tails_kernelIib15custom_flag_op1IiELj256ELj1EEvPT_Px,comdat
.Lfunc_end41:
	.size	_Z17flag_tails_kernelIib15custom_flag_op1IiELj256ELj1EEvPT_Px, .Lfunc_end41-_Z17flag_tails_kernelIib15custom_flag_op1IiELj256ELj1EEvPT_Px
                                        ; -- End function
	.set _Z17flag_tails_kernelIib15custom_flag_op1IiELj256ELj1EEvPT_Px.num_vgpr, 5
	.set _Z17flag_tails_kernelIib15custom_flag_op1IiELj256ELj1EEvPT_Px.num_agpr, 0
	.set _Z17flag_tails_kernelIib15custom_flag_op1IiELj256ELj1EEvPT_Px.numbered_sgpr, 9
	.set _Z17flag_tails_kernelIib15custom_flag_op1IiELj256ELj1EEvPT_Px.num_named_barrier, 0
	.set _Z17flag_tails_kernelIib15custom_flag_op1IiELj256ELj1EEvPT_Px.private_seg_size, 0
	.set _Z17flag_tails_kernelIib15custom_flag_op1IiELj256ELj1EEvPT_Px.uses_vcc, 1
	.set _Z17flag_tails_kernelIib15custom_flag_op1IiELj256ELj1EEvPT_Px.uses_flat_scratch, 0
	.set _Z17flag_tails_kernelIib15custom_flag_op1IiELj256ELj1EEvPT_Px.has_dyn_sized_stack, 0
	.set _Z17flag_tails_kernelIib15custom_flag_op1IiELj256ELj1EEvPT_Px.has_recursion, 0
	.set _Z17flag_tails_kernelIib15custom_flag_op1IiELj256ELj1EEvPT_Px.has_indirect_call, 0
	.section	.AMDGPU.csdata,"",@progbits
; Kernel info:
; codeLenInByte = 432
; TotalNumSgprs: 11
; NumVgprs: 5
; ScratchSize: 0
; MemoryBound: 0
; FloatMode: 240
; IeeeMode: 1
; LDSByteSize: 2048 bytes/workgroup (compile time only)
; SGPRBlocks: 0
; VGPRBlocks: 0
; NumSGPRsForWavesPerEU: 11
; NumVGPRsForWavesPerEU: 5
; NamedBarCnt: 0
; Occupancy: 16
; WaveLimiterHint : 0
; COMPUTE_PGM_RSRC2:SCRATCH_EN: 0
; COMPUTE_PGM_RSRC2:USER_SGPR: 2
; COMPUTE_PGM_RSRC2:TRAP_HANDLER: 0
; COMPUTE_PGM_RSRC2:TGID_X_EN: 1
; COMPUTE_PGM_RSRC2:TGID_Y_EN: 0
; COMPUTE_PGM_RSRC2:TGID_Z_EN: 0
; COMPUTE_PGM_RSRC2:TIDIG_COMP_CNT: 0
	.section	.text._Z17flag_tails_kernelIccN10test_utils10less_equalELj1024ELj1EEvPT_Px,"axG",@progbits,_Z17flag_tails_kernelIccN10test_utils10less_equalELj1024ELj1EEvPT_Px,comdat
	.protected	_Z17flag_tails_kernelIccN10test_utils10less_equalELj1024ELj1EEvPT_Px ; -- Begin function _Z17flag_tails_kernelIccN10test_utils10less_equalELj1024ELj1EEvPT_Px
	.globl	_Z17flag_tails_kernelIccN10test_utils10less_equalELj1024ELj1EEvPT_Px
	.p2align	8
	.type	_Z17flag_tails_kernelIccN10test_utils10less_equalELj1024ELj1EEvPT_Px,@function
_Z17flag_tails_kernelIccN10test_utils10less_equalELj1024ELj1EEvPT_Px: ; @_Z17flag_tails_kernelIccN10test_utils10less_equalELj1024ELj1EEvPT_Px
; %bb.0:
	s_load_b128 s[0:3], s[0:1], 0x0
	s_bfe_u32 s4, ttmp6, 0x4000c
	s_and_b32 s5, ttmp6, 15
	s_add_co_i32 s4, s4, 1
	s_getreg_b32 s6, hwreg(HW_REG_IB_STS2, 6, 4)
	s_mul_i32 s4, ttmp9, s4
	s_delay_alu instid0(SALU_CYCLE_1)
	s_add_co_i32 s5, s5, s4
	s_cmp_eq_u32 s6, 0
	s_cselect_b32 s8, ttmp9, s5
	s_mov_b32 s5, 0
	s_lshl_b32 s4, s8, 10
	s_bitcmp1_b32 s8, 0
	s_wait_kmcnt 0x0
	s_add_nc_u64 s[6:7], s[0:1], s[4:5]
	s_cselect_b32 s0, -1, 0
	global_load_i8 v1, v0, s[6:7]
	s_and_b32 vcc_lo, exec_lo, s0
	v_cmp_ne_u32_e64 s0, 0x3ff, v0
	s_cbranch_vccz .LBB42_4
; %bb.1:
	s_mov_b32 s1, -1
	s_wait_loadcnt 0x0
	ds_store_b8 v0, v1 offset:1024
	s_wait_dscnt 0x0
	s_barrier_signal -1
	s_barrier_wait -1
	s_and_saveexec_b32 s8, s0
	s_cbranch_execz .LBB42_3
; %bb.2:
	ds_load_i8 v2, v0 offset:1025
	s_wait_dscnt 0x0
	v_cmp_le_i16_e32 vcc_lo, v2, v1
	s_or_not1_b32 s1, vcc_lo, exec_lo
.LBB42_3:
	s_or_b32 exec_lo, exec_lo, s8
	s_cbranch_execz .LBB42_5
	s_branch .LBB42_8
.LBB42_4:
                                        ; implicit-def: $sgpr1
.LBB42_5:
	v_mov_b32_e32 v2, 0
	s_mov_b32 s0, exec_lo
	s_wait_loadcnt 0x0
	ds_store_b8 v0, v1 offset:1024
	global_load_u8 v2, v2, s[6:7] offset:1024
	s_wait_loadcnt_dscnt 0x0
	s_barrier_signal -1
	s_barrier_wait -1
	v_cmpx_ne_u32_e32 0x3ff, v0
; %bb.6:
	ds_load_u8 v2, v0 offset:1025
; %bb.7:
	s_or_b32 exec_lo, exec_lo, s0
	s_wait_dscnt 0x0
	v_bfe_i32 v2, v2, 0, 8
	s_delay_alu instid0(VALU_DEP_1)
	v_cmp_le_i16_e64 s1, v2, v1
.LBB42_8:
	s_mov_b32 s0, 0
	s_delay_alu instid0(VALU_DEP_1) | instskip(SKIP_2) | instid1(SALU_CYCLE_1)
	v_cndmask_b32_e64 v2, 0, 1, s1
	v_mov_b32_e32 v3, s0
	s_lshl_b64 s[0:1], s[4:5], 3
	s_add_nc_u64 s[0:1], s[2:3], s[0:1]
	global_store_b64 v0, v[2:3], s[0:1] scale_offset
	s_endpgm
	.section	.rodata,"a",@progbits
	.p2align	6, 0x0
	.amdhsa_kernel _Z17flag_tails_kernelIccN10test_utils10less_equalELj1024ELj1EEvPT_Px
		.amdhsa_group_segment_fixed_size 2048
		.amdhsa_private_segment_fixed_size 0
		.amdhsa_kernarg_size 16
		.amdhsa_user_sgpr_count 2
		.amdhsa_user_sgpr_dispatch_ptr 0
		.amdhsa_user_sgpr_queue_ptr 0
		.amdhsa_user_sgpr_kernarg_segment_ptr 1
		.amdhsa_user_sgpr_dispatch_id 0
		.amdhsa_user_sgpr_kernarg_preload_length 0
		.amdhsa_user_sgpr_kernarg_preload_offset 0
		.amdhsa_user_sgpr_private_segment_size 0
		.amdhsa_wavefront_size32 1
		.amdhsa_uses_dynamic_stack 0
		.amdhsa_enable_private_segment 0
		.amdhsa_system_sgpr_workgroup_id_x 1
		.amdhsa_system_sgpr_workgroup_id_y 0
		.amdhsa_system_sgpr_workgroup_id_z 0
		.amdhsa_system_sgpr_workgroup_info 0
		.amdhsa_system_vgpr_workitem_id 0
		.amdhsa_next_free_vgpr 4
		.amdhsa_next_free_sgpr 9
		.amdhsa_named_barrier_count 0
		.amdhsa_reserve_vcc 1
		.amdhsa_float_round_mode_32 0
		.amdhsa_float_round_mode_16_64 0
		.amdhsa_float_denorm_mode_32 3
		.amdhsa_float_denorm_mode_16_64 3
		.amdhsa_fp16_overflow 0
		.amdhsa_memory_ordered 1
		.amdhsa_forward_progress 1
		.amdhsa_inst_pref_size 3
		.amdhsa_round_robin_scheduling 0
		.amdhsa_exception_fp_ieee_invalid_op 0
		.amdhsa_exception_fp_denorm_src 0
		.amdhsa_exception_fp_ieee_div_zero 0
		.amdhsa_exception_fp_ieee_overflow 0
		.amdhsa_exception_fp_ieee_underflow 0
		.amdhsa_exception_fp_ieee_inexact 0
		.amdhsa_exception_int_div_zero 0
	.end_amdhsa_kernel
	.section	.text._Z17flag_tails_kernelIccN10test_utils10less_equalELj1024ELj1EEvPT_Px,"axG",@progbits,_Z17flag_tails_kernelIccN10test_utils10less_equalELj1024ELj1EEvPT_Px,comdat
.Lfunc_end42:
	.size	_Z17flag_tails_kernelIccN10test_utils10less_equalELj1024ELj1EEvPT_Px, .Lfunc_end42-_Z17flag_tails_kernelIccN10test_utils10less_equalELj1024ELj1EEvPT_Px
                                        ; -- End function
	.set _Z17flag_tails_kernelIccN10test_utils10less_equalELj1024ELj1EEvPT_Px.num_vgpr, 4
	.set _Z17flag_tails_kernelIccN10test_utils10less_equalELj1024ELj1EEvPT_Px.num_agpr, 0
	.set _Z17flag_tails_kernelIccN10test_utils10less_equalELj1024ELj1EEvPT_Px.numbered_sgpr, 9
	.set _Z17flag_tails_kernelIccN10test_utils10less_equalELj1024ELj1EEvPT_Px.num_named_barrier, 0
	.set _Z17flag_tails_kernelIccN10test_utils10less_equalELj1024ELj1EEvPT_Px.private_seg_size, 0
	.set _Z17flag_tails_kernelIccN10test_utils10less_equalELj1024ELj1EEvPT_Px.uses_vcc, 1
	.set _Z17flag_tails_kernelIccN10test_utils10less_equalELj1024ELj1EEvPT_Px.uses_flat_scratch, 0
	.set _Z17flag_tails_kernelIccN10test_utils10less_equalELj1024ELj1EEvPT_Px.has_dyn_sized_stack, 0
	.set _Z17flag_tails_kernelIccN10test_utils10less_equalELj1024ELj1EEvPT_Px.has_recursion, 0
	.set _Z17flag_tails_kernelIccN10test_utils10less_equalELj1024ELj1EEvPT_Px.has_indirect_call, 0
	.section	.AMDGPU.csdata,"",@progbits
; Kernel info:
; codeLenInByte = 304
; TotalNumSgprs: 11
; NumVgprs: 4
; ScratchSize: 0
; MemoryBound: 0
; FloatMode: 240
; IeeeMode: 1
; LDSByteSize: 2048 bytes/workgroup (compile time only)
; SGPRBlocks: 0
; VGPRBlocks: 0
; NumSGPRsForWavesPerEU: 11
; NumVGPRsForWavesPerEU: 4
; NamedBarCnt: 0
; Occupancy: 16
; WaveLimiterHint : 0
; COMPUTE_PGM_RSRC2:SCRATCH_EN: 0
; COMPUTE_PGM_RSRC2:USER_SGPR: 2
; COMPUTE_PGM_RSRC2:TRAP_HANDLER: 0
; COMPUTE_PGM_RSRC2:TGID_X_EN: 1
; COMPUTE_PGM_RSRC2:TGID_Y_EN: 0
; COMPUTE_PGM_RSRC2:TGID_Z_EN: 0
; COMPUTE_PGM_RSRC2:TIDIG_COMP_CNT: 0
	.section	.text._Z17flag_tails_kernelI12hip_bfloat16iN10test_utils4lessELj256ELj1EEvPT_Px,"axG",@progbits,_Z17flag_tails_kernelI12hip_bfloat16iN10test_utils4lessELj256ELj1EEvPT_Px,comdat
	.protected	_Z17flag_tails_kernelI12hip_bfloat16iN10test_utils4lessELj256ELj1EEvPT_Px ; -- Begin function _Z17flag_tails_kernelI12hip_bfloat16iN10test_utils4lessELj256ELj1EEvPT_Px
	.globl	_Z17flag_tails_kernelI12hip_bfloat16iN10test_utils4lessELj256ELj1EEvPT_Px
	.p2align	8
	.type	_Z17flag_tails_kernelI12hip_bfloat16iN10test_utils4lessELj256ELj1EEvPT_Px,@function
_Z17flag_tails_kernelI12hip_bfloat16iN10test_utils4lessELj256ELj1EEvPT_Px: ; @_Z17flag_tails_kernelI12hip_bfloat16iN10test_utils4lessELj256ELj1EEvPT_Px
; %bb.0:
	s_load_b128 s[0:3], s[0:1], 0x0
	s_bfe_u32 s4, ttmp6, 0x4000c
	s_and_b32 s5, ttmp6, 15
	s_add_co_i32 s4, s4, 1
	s_getreg_b32 s6, hwreg(HW_REG_IB_STS2, 6, 4)
	s_mul_i32 s4, ttmp9, s4
	v_lshlrev_b32_e32 v2, 1, v0
	s_add_co_i32 s5, s5, s4
	s_cmp_eq_u32 s6, 0
	s_cselect_b32 s8, ttmp9, s5
	s_mov_b32 s5, 0
	s_lshl_b32 s4, s8, 8
	s_delay_alu instid0(SALU_CYCLE_1)
	s_lshl_b64 s[6:7], s[4:5], 1
	s_bitcmp1_b32 s8, 0
	s_wait_kmcnt 0x0
	s_add_nc_u64 s[6:7], s[0:1], s[6:7]
	s_cselect_b32 s0, -1, 0
	global_load_u16 v1, v0, s[6:7] scale_offset
	s_and_b32 vcc_lo, exec_lo, s0
	v_cmp_ne_u32_e64 s0, 0xff, v0
	s_cbranch_vccz .LBB43_4
; %bb.1:
	s_mov_b32 s1, -1
	s_wait_loadcnt 0x0
	ds_store_b16 v2, v1 offset:512
	s_wait_dscnt 0x0
	s_barrier_signal -1
	s_barrier_wait -1
	s_and_saveexec_b32 s8, s0
	s_cbranch_execz .LBB43_3
; %bb.2:
	ds_load_u16 v3, v2 offset:514
	s_wait_dscnt 0x0
	v_dual_lshlrev_b32 v4, 16, v1 :: v_dual_lshlrev_b32 v3, 16, v3
	s_delay_alu instid0(VALU_DEP_1)
	v_cmp_lt_f32_e32 vcc_lo, v3, v4
	s_or_not1_b32 s1, vcc_lo, exec_lo
.LBB43_3:
	s_or_b32 exec_lo, exec_lo, s8
	s_cbranch_execz .LBB43_5
	s_branch .LBB43_8
.LBB43_4:
                                        ; implicit-def: $sgpr1
.LBB43_5:
	v_mov_b32_e32 v3, 0
	s_mov_b32 s0, exec_lo
	s_wait_loadcnt 0x0
	ds_store_b16 v2, v1 offset:512
	global_load_u16 v3, v3, s[6:7] offset:512
	s_wait_loadcnt_dscnt 0x0
	s_barrier_signal -1
	s_barrier_wait -1
	v_cmpx_ne_u32_e32 0xff, v0
; %bb.6:
	ds_load_u16 v3, v2 offset:514
; %bb.7:
	s_or_b32 exec_lo, exec_lo, s0
	s_wait_dscnt 0x0
	v_dual_lshlrev_b32 v1, 16, v1 :: v_dual_lshlrev_b32 v2, 16, v3
	s_delay_alu instid0(VALU_DEP_1)
	v_cmp_lt_f32_e64 s1, v2, v1
.LBB43_8:
	s_mov_b32 s0, 0
	s_delay_alu instid0(VALU_DEP_1) | instskip(SKIP_2) | instid1(SALU_CYCLE_1)
	v_cndmask_b32_e64 v2, 0, 1, s1
	v_mov_b32_e32 v3, s0
	s_lshl_b64 s[0:1], s[4:5], 3
	s_add_nc_u64 s[0:1], s[2:3], s[0:1]
	global_store_b64 v0, v[2:3], s[0:1] scale_offset
	s_endpgm
	.section	.rodata,"a",@progbits
	.p2align	6, 0x0
	.amdhsa_kernel _Z17flag_tails_kernelI12hip_bfloat16iN10test_utils4lessELj256ELj1EEvPT_Px
		.amdhsa_group_segment_fixed_size 1024
		.amdhsa_private_segment_fixed_size 0
		.amdhsa_kernarg_size 16
		.amdhsa_user_sgpr_count 2
		.amdhsa_user_sgpr_dispatch_ptr 0
		.amdhsa_user_sgpr_queue_ptr 0
		.amdhsa_user_sgpr_kernarg_segment_ptr 1
		.amdhsa_user_sgpr_dispatch_id 0
		.amdhsa_user_sgpr_kernarg_preload_length 0
		.amdhsa_user_sgpr_kernarg_preload_offset 0
		.amdhsa_user_sgpr_private_segment_size 0
		.amdhsa_wavefront_size32 1
		.amdhsa_uses_dynamic_stack 0
		.amdhsa_enable_private_segment 0
		.amdhsa_system_sgpr_workgroup_id_x 1
		.amdhsa_system_sgpr_workgroup_id_y 0
		.amdhsa_system_sgpr_workgroup_id_z 0
		.amdhsa_system_sgpr_workgroup_info 0
		.amdhsa_system_vgpr_workitem_id 0
		.amdhsa_next_free_vgpr 5
		.amdhsa_next_free_sgpr 9
		.amdhsa_named_barrier_count 0
		.amdhsa_reserve_vcc 1
		.amdhsa_float_round_mode_32 0
		.amdhsa_float_round_mode_16_64 0
		.amdhsa_float_denorm_mode_32 3
		.amdhsa_float_denorm_mode_16_64 3
		.amdhsa_fp16_overflow 0
		.amdhsa_memory_ordered 1
		.amdhsa_forward_progress 1
		.amdhsa_inst_pref_size 3
		.amdhsa_round_robin_scheduling 0
		.amdhsa_exception_fp_ieee_invalid_op 0
		.amdhsa_exception_fp_denorm_src 0
		.amdhsa_exception_fp_ieee_div_zero 0
		.amdhsa_exception_fp_ieee_overflow 0
		.amdhsa_exception_fp_ieee_underflow 0
		.amdhsa_exception_fp_ieee_inexact 0
		.amdhsa_exception_int_div_zero 0
	.end_amdhsa_kernel
	.section	.text._Z17flag_tails_kernelI12hip_bfloat16iN10test_utils4lessELj256ELj1EEvPT_Px,"axG",@progbits,_Z17flag_tails_kernelI12hip_bfloat16iN10test_utils4lessELj256ELj1EEvPT_Px,comdat
.Lfunc_end43:
	.size	_Z17flag_tails_kernelI12hip_bfloat16iN10test_utils4lessELj256ELj1EEvPT_Px, .Lfunc_end43-_Z17flag_tails_kernelI12hip_bfloat16iN10test_utils4lessELj256ELj1EEvPT_Px
                                        ; -- End function
	.set _Z17flag_tails_kernelI12hip_bfloat16iN10test_utils4lessELj256ELj1EEvPT_Px.num_vgpr, 5
	.set _Z17flag_tails_kernelI12hip_bfloat16iN10test_utils4lessELj256ELj1EEvPT_Px.num_agpr, 0
	.set _Z17flag_tails_kernelI12hip_bfloat16iN10test_utils4lessELj256ELj1EEvPT_Px.numbered_sgpr, 9
	.set _Z17flag_tails_kernelI12hip_bfloat16iN10test_utils4lessELj256ELj1EEvPT_Px.num_named_barrier, 0
	.set _Z17flag_tails_kernelI12hip_bfloat16iN10test_utils4lessELj256ELj1EEvPT_Px.private_seg_size, 0
	.set _Z17flag_tails_kernelI12hip_bfloat16iN10test_utils4lessELj256ELj1EEvPT_Px.uses_vcc, 1
	.set _Z17flag_tails_kernelI12hip_bfloat16iN10test_utils4lessELj256ELj1EEvPT_Px.uses_flat_scratch, 0
	.set _Z17flag_tails_kernelI12hip_bfloat16iN10test_utils4lessELj256ELj1EEvPT_Px.has_dyn_sized_stack, 0
	.set _Z17flag_tails_kernelI12hip_bfloat16iN10test_utils4lessELj256ELj1EEvPT_Px.has_recursion, 0
	.set _Z17flag_tails_kernelI12hip_bfloat16iN10test_utils4lessELj256ELj1EEvPT_Px.has_indirect_call, 0
	.section	.AMDGPU.csdata,"",@progbits
; Kernel info:
; codeLenInByte = 332
; TotalNumSgprs: 11
; NumVgprs: 5
; ScratchSize: 0
; MemoryBound: 0
; FloatMode: 240
; IeeeMode: 1
; LDSByteSize: 1024 bytes/workgroup (compile time only)
; SGPRBlocks: 0
; VGPRBlocks: 0
; NumSGPRsForWavesPerEU: 11
; NumVGPRsForWavesPerEU: 5
; NamedBarCnt: 0
; Occupancy: 16
; WaveLimiterHint : 0
; COMPUTE_PGM_RSRC2:SCRATCH_EN: 0
; COMPUTE_PGM_RSRC2:USER_SGPR: 2
; COMPUTE_PGM_RSRC2:TRAP_HANDLER: 0
; COMPUTE_PGM_RSRC2:TGID_X_EN: 1
; COMPUTE_PGM_RSRC2:TGID_Y_EN: 0
; COMPUTE_PGM_RSRC2:TGID_Z_EN: 0
; COMPUTE_PGM_RSRC2:TIDIG_COMP_CNT: 0
	.section	.text._Z17flag_tails_kernelI6__halfiN10test_utils4lessELj256ELj1EEvPT_Px,"axG",@progbits,_Z17flag_tails_kernelI6__halfiN10test_utils4lessELj256ELj1EEvPT_Px,comdat
	.protected	_Z17flag_tails_kernelI6__halfiN10test_utils4lessELj256ELj1EEvPT_Px ; -- Begin function _Z17flag_tails_kernelI6__halfiN10test_utils4lessELj256ELj1EEvPT_Px
	.globl	_Z17flag_tails_kernelI6__halfiN10test_utils4lessELj256ELj1EEvPT_Px
	.p2align	8
	.type	_Z17flag_tails_kernelI6__halfiN10test_utils4lessELj256ELj1EEvPT_Px,@function
_Z17flag_tails_kernelI6__halfiN10test_utils4lessELj256ELj1EEvPT_Px: ; @_Z17flag_tails_kernelI6__halfiN10test_utils4lessELj256ELj1EEvPT_Px
; %bb.0:
	s_load_b128 s[0:3], s[0:1], 0x0
	s_bfe_u32 s4, ttmp6, 0x4000c
	s_and_b32 s5, ttmp6, 15
	s_add_co_i32 s4, s4, 1
	s_getreg_b32 s6, hwreg(HW_REG_IB_STS2, 6, 4)
	s_mul_i32 s4, ttmp9, s4
	v_lshlrev_b32_e32 v2, 1, v0
	s_add_co_i32 s5, s5, s4
	s_cmp_eq_u32 s6, 0
	s_cselect_b32 s8, ttmp9, s5
	s_mov_b32 s5, 0
	s_lshl_b32 s4, s8, 8
	s_delay_alu instid0(SALU_CYCLE_1)
	s_lshl_b64 s[6:7], s[4:5], 1
	s_bitcmp1_b32 s8, 0
	s_wait_kmcnt 0x0
	s_add_nc_u64 s[6:7], s[0:1], s[6:7]
	s_cselect_b32 s0, -1, 0
	global_load_u16 v1, v0, s[6:7] scale_offset
	s_and_b32 vcc_lo, exec_lo, s0
	v_cmp_ne_u32_e64 s0, 0xff, v0
	s_cbranch_vccz .LBB44_4
; %bb.1:
	s_mov_b32 s1, -1
	s_wait_loadcnt 0x0
	ds_store_b16 v2, v1 offset:512
	s_wait_dscnt 0x0
	s_barrier_signal -1
	s_barrier_wait -1
	s_and_saveexec_b32 s8, s0
	s_cbranch_execz .LBB44_3
; %bb.2:
	ds_load_u16 v3, v2 offset:514
	s_wait_dscnt 0x0
	v_cmp_lt_f16_e32 vcc_lo, v3, v1
	s_or_not1_b32 s1, vcc_lo, exec_lo
.LBB44_3:
	s_or_b32 exec_lo, exec_lo, s8
	s_cbranch_execz .LBB44_5
	s_branch .LBB44_8
.LBB44_4:
                                        ; implicit-def: $sgpr1
.LBB44_5:
	v_mov_b32_e32 v3, 0
	s_mov_b32 s0, exec_lo
	s_wait_loadcnt 0x0
	ds_store_b16 v2, v1 offset:512
	global_load_u16 v3, v3, s[6:7] offset:512
	s_wait_loadcnt_dscnt 0x0
	s_barrier_signal -1
	s_barrier_wait -1
	v_cmpx_ne_u32_e32 0xff, v0
; %bb.6:
	ds_load_u16 v3, v2 offset:514
; %bb.7:
	s_or_b32 exec_lo, exec_lo, s0
	s_wait_dscnt 0x0
	v_cmp_lt_f16_e64 s1, v3, v1
.LBB44_8:
	s_mov_b32 s0, 0
	s_delay_alu instid0(VALU_DEP_1) | instskip(SKIP_2) | instid1(SALU_CYCLE_1)
	v_cndmask_b32_e64 v2, 0, 1, s1
	v_mov_b32_e32 v3, s0
	s_lshl_b64 s[0:1], s[4:5], 3
	s_add_nc_u64 s[0:1], s[2:3], s[0:1]
	global_store_b64 v0, v[2:3], s[0:1] scale_offset
	s_endpgm
	.section	.rodata,"a",@progbits
	.p2align	6, 0x0
	.amdhsa_kernel _Z17flag_tails_kernelI6__halfiN10test_utils4lessELj256ELj1EEvPT_Px
		.amdhsa_group_segment_fixed_size 1024
		.amdhsa_private_segment_fixed_size 0
		.amdhsa_kernarg_size 16
		.amdhsa_user_sgpr_count 2
		.amdhsa_user_sgpr_dispatch_ptr 0
		.amdhsa_user_sgpr_queue_ptr 0
		.amdhsa_user_sgpr_kernarg_segment_ptr 1
		.amdhsa_user_sgpr_dispatch_id 0
		.amdhsa_user_sgpr_kernarg_preload_length 0
		.amdhsa_user_sgpr_kernarg_preload_offset 0
		.amdhsa_user_sgpr_private_segment_size 0
		.amdhsa_wavefront_size32 1
		.amdhsa_uses_dynamic_stack 0
		.amdhsa_enable_private_segment 0
		.amdhsa_system_sgpr_workgroup_id_x 1
		.amdhsa_system_sgpr_workgroup_id_y 0
		.amdhsa_system_sgpr_workgroup_id_z 0
		.amdhsa_system_sgpr_workgroup_info 0
		.amdhsa_system_vgpr_workitem_id 0
		.amdhsa_next_free_vgpr 4
		.amdhsa_next_free_sgpr 9
		.amdhsa_named_barrier_count 0
		.amdhsa_reserve_vcc 1
		.amdhsa_float_round_mode_32 0
		.amdhsa_float_round_mode_16_64 0
		.amdhsa_float_denorm_mode_32 3
		.amdhsa_float_denorm_mode_16_64 3
		.amdhsa_fp16_overflow 0
		.amdhsa_memory_ordered 1
		.amdhsa_forward_progress 1
		.amdhsa_inst_pref_size 3
		.amdhsa_round_robin_scheduling 0
		.amdhsa_exception_fp_ieee_invalid_op 0
		.amdhsa_exception_fp_denorm_src 0
		.amdhsa_exception_fp_ieee_div_zero 0
		.amdhsa_exception_fp_ieee_overflow 0
		.amdhsa_exception_fp_ieee_underflow 0
		.amdhsa_exception_fp_ieee_inexact 0
		.amdhsa_exception_int_div_zero 0
	.end_amdhsa_kernel
	.section	.text._Z17flag_tails_kernelI6__halfiN10test_utils4lessELj256ELj1EEvPT_Px,"axG",@progbits,_Z17flag_tails_kernelI6__halfiN10test_utils4lessELj256ELj1EEvPT_Px,comdat
.Lfunc_end44:
	.size	_Z17flag_tails_kernelI6__halfiN10test_utils4lessELj256ELj1EEvPT_Px, .Lfunc_end44-_Z17flag_tails_kernelI6__halfiN10test_utils4lessELj256ELj1EEvPT_Px
                                        ; -- End function
	.set _Z17flag_tails_kernelI6__halfiN10test_utils4lessELj256ELj1EEvPT_Px.num_vgpr, 4
	.set _Z17flag_tails_kernelI6__halfiN10test_utils4lessELj256ELj1EEvPT_Px.num_agpr, 0
	.set _Z17flag_tails_kernelI6__halfiN10test_utils4lessELj256ELj1EEvPT_Px.numbered_sgpr, 9
	.set _Z17flag_tails_kernelI6__halfiN10test_utils4lessELj256ELj1EEvPT_Px.num_named_barrier, 0
	.set _Z17flag_tails_kernelI6__halfiN10test_utils4lessELj256ELj1EEvPT_Px.private_seg_size, 0
	.set _Z17flag_tails_kernelI6__halfiN10test_utils4lessELj256ELj1EEvPT_Px.uses_vcc, 1
	.set _Z17flag_tails_kernelI6__halfiN10test_utils4lessELj256ELj1EEvPT_Px.uses_flat_scratch, 0
	.set _Z17flag_tails_kernelI6__halfiN10test_utils4lessELj256ELj1EEvPT_Px.has_dyn_sized_stack, 0
	.set _Z17flag_tails_kernelI6__halfiN10test_utils4lessELj256ELj1EEvPT_Px.has_recursion, 0
	.set _Z17flag_tails_kernelI6__halfiN10test_utils4lessELj256ELj1EEvPT_Px.has_indirect_call, 0
	.section	.AMDGPU.csdata,"",@progbits
; Kernel info:
; codeLenInByte = 300
; TotalNumSgprs: 11
; NumVgprs: 4
; ScratchSize: 0
; MemoryBound: 0
; FloatMode: 240
; IeeeMode: 1
; LDSByteSize: 1024 bytes/workgroup (compile time only)
; SGPRBlocks: 0
; VGPRBlocks: 0
; NumSGPRsForWavesPerEU: 11
; NumVGPRsForWavesPerEU: 4
; NamedBarCnt: 0
; Occupancy: 16
; WaveLimiterHint : 0
; COMPUTE_PGM_RSRC2:SCRATCH_EN: 0
; COMPUTE_PGM_RSRC2:USER_SGPR: 2
; COMPUTE_PGM_RSRC2:TRAP_HANDLER: 0
; COMPUTE_PGM_RSRC2:TGID_X_EN: 1
; COMPUTE_PGM_RSRC2:TGID_Y_EN: 0
; COMPUTE_PGM_RSRC2:TGID_Z_EN: 0
; COMPUTE_PGM_RSRC2:TIDIG_COMP_CNT: 0
	.section	.text._Z17flag_tails_kernelIfiN10test_utils4lessELj256ELj1EEvPT_Px,"axG",@progbits,_Z17flag_tails_kernelIfiN10test_utils4lessELj256ELj1EEvPT_Px,comdat
	.protected	_Z17flag_tails_kernelIfiN10test_utils4lessELj256ELj1EEvPT_Px ; -- Begin function _Z17flag_tails_kernelIfiN10test_utils4lessELj256ELj1EEvPT_Px
	.globl	_Z17flag_tails_kernelIfiN10test_utils4lessELj256ELj1EEvPT_Px
	.p2align	8
	.type	_Z17flag_tails_kernelIfiN10test_utils4lessELj256ELj1EEvPT_Px,@function
_Z17flag_tails_kernelIfiN10test_utils4lessELj256ELj1EEvPT_Px: ; @_Z17flag_tails_kernelIfiN10test_utils4lessELj256ELj1EEvPT_Px
; %bb.0:
	s_load_b128 s[0:3], s[0:1], 0x0
	s_bfe_u32 s4, ttmp6, 0x4000c
	s_and_b32 s5, ttmp6, 15
	s_add_co_i32 s4, s4, 1
	s_getreg_b32 s6, hwreg(HW_REG_IB_STS2, 6, 4)
	s_mul_i32 s4, ttmp9, s4
	v_lshlrev_b32_e32 v2, 2, v0
	s_add_co_i32 s5, s5, s4
	s_cmp_eq_u32 s6, 0
	s_cselect_b32 s8, ttmp9, s5
	s_mov_b32 s5, 0
	s_lshl_b32 s4, s8, 8
	s_delay_alu instid0(SALU_CYCLE_1)
	s_lshl_b64 s[6:7], s[4:5], 2
	s_bitcmp1_b32 s8, 0
	s_wait_kmcnt 0x0
	s_add_nc_u64 s[6:7], s[0:1], s[6:7]
	s_cselect_b32 s0, -1, 0
	global_load_b32 v1, v0, s[6:7] scale_offset
	s_and_b32 vcc_lo, exec_lo, s0
	v_cmp_ne_u32_e64 s0, 0xff, v0
	s_cbranch_vccz .LBB45_4
; %bb.1:
	s_mov_b32 s1, -1
	s_wait_loadcnt 0x0
	ds_store_b32 v2, v1 offset:1024
	s_wait_dscnt 0x0
	s_barrier_signal -1
	s_barrier_wait -1
	s_and_saveexec_b32 s8, s0
	s_cbranch_execz .LBB45_3
; %bb.2:
	ds_load_b32 v3, v2 offset:1028
	s_wait_dscnt 0x0
	v_cmp_lt_f32_e32 vcc_lo, v3, v1
	s_or_not1_b32 s1, vcc_lo, exec_lo
.LBB45_3:
	s_or_b32 exec_lo, exec_lo, s8
	s_cbranch_execz .LBB45_5
	s_branch .LBB45_8
.LBB45_4:
                                        ; implicit-def: $sgpr1
.LBB45_5:
	s_load_b32 s0, s[6:7], 0x400
	s_wait_loadcnt 0x0
	ds_store_b32 v2, v1 offset:1024
	s_wait_dscnt 0x0
	s_barrier_signal -1
	s_barrier_wait -1
	s_wait_kmcnt 0x0
	v_mov_b32_e32 v3, s0
	s_mov_b32 s0, exec_lo
	v_cmpx_ne_u32_e32 0xff, v0
; %bb.6:
	ds_load_b32 v3, v2 offset:1028
; %bb.7:
	s_or_b32 exec_lo, exec_lo, s0
	s_wait_dscnt 0x0
	v_cmp_lt_f32_e64 s1, v3, v1
.LBB45_8:
	s_mov_b32 s0, 0
	s_delay_alu instid0(VALU_DEP_1) | instskip(SKIP_2) | instid1(SALU_CYCLE_1)
	v_cndmask_b32_e64 v2, 0, 1, s1
	v_mov_b32_e32 v3, s0
	s_lshl_b64 s[0:1], s[4:5], 3
	s_add_nc_u64 s[0:1], s[2:3], s[0:1]
	global_store_b64 v0, v[2:3], s[0:1] scale_offset
	s_endpgm
	.section	.rodata,"a",@progbits
	.p2align	6, 0x0
	.amdhsa_kernel _Z17flag_tails_kernelIfiN10test_utils4lessELj256ELj1EEvPT_Px
		.amdhsa_group_segment_fixed_size 2048
		.amdhsa_private_segment_fixed_size 0
		.amdhsa_kernarg_size 16
		.amdhsa_user_sgpr_count 2
		.amdhsa_user_sgpr_dispatch_ptr 0
		.amdhsa_user_sgpr_queue_ptr 0
		.amdhsa_user_sgpr_kernarg_segment_ptr 1
		.amdhsa_user_sgpr_dispatch_id 0
		.amdhsa_user_sgpr_kernarg_preload_length 0
		.amdhsa_user_sgpr_kernarg_preload_offset 0
		.amdhsa_user_sgpr_private_segment_size 0
		.amdhsa_wavefront_size32 1
		.amdhsa_uses_dynamic_stack 0
		.amdhsa_enable_private_segment 0
		.amdhsa_system_sgpr_workgroup_id_x 1
		.amdhsa_system_sgpr_workgroup_id_y 0
		.amdhsa_system_sgpr_workgroup_id_z 0
		.amdhsa_system_sgpr_workgroup_info 0
		.amdhsa_system_vgpr_workitem_id 0
		.amdhsa_next_free_vgpr 4
		.amdhsa_next_free_sgpr 9
		.amdhsa_named_barrier_count 0
		.amdhsa_reserve_vcc 1
		.amdhsa_float_round_mode_32 0
		.amdhsa_float_round_mode_16_64 0
		.amdhsa_float_denorm_mode_32 3
		.amdhsa_float_denorm_mode_16_64 3
		.amdhsa_fp16_overflow 0
		.amdhsa_memory_ordered 1
		.amdhsa_forward_progress 1
		.amdhsa_inst_pref_size 3
		.amdhsa_round_robin_scheduling 0
		.amdhsa_exception_fp_ieee_invalid_op 0
		.amdhsa_exception_fp_denorm_src 0
		.amdhsa_exception_fp_ieee_div_zero 0
		.amdhsa_exception_fp_ieee_overflow 0
		.amdhsa_exception_fp_ieee_underflow 0
		.amdhsa_exception_fp_ieee_inexact 0
		.amdhsa_exception_int_div_zero 0
	.end_amdhsa_kernel
	.section	.text._Z17flag_tails_kernelIfiN10test_utils4lessELj256ELj1EEvPT_Px,"axG",@progbits,_Z17flag_tails_kernelIfiN10test_utils4lessELj256ELj1EEvPT_Px,comdat
.Lfunc_end45:
	.size	_Z17flag_tails_kernelIfiN10test_utils4lessELj256ELj1EEvPT_Px, .Lfunc_end45-_Z17flag_tails_kernelIfiN10test_utils4lessELj256ELj1EEvPT_Px
                                        ; -- End function
	.set _Z17flag_tails_kernelIfiN10test_utils4lessELj256ELj1EEvPT_Px.num_vgpr, 4
	.set _Z17flag_tails_kernelIfiN10test_utils4lessELj256ELj1EEvPT_Px.num_agpr, 0
	.set _Z17flag_tails_kernelIfiN10test_utils4lessELj256ELj1EEvPT_Px.numbered_sgpr, 9
	.set _Z17flag_tails_kernelIfiN10test_utils4lessELj256ELj1EEvPT_Px.num_named_barrier, 0
	.set _Z17flag_tails_kernelIfiN10test_utils4lessELj256ELj1EEvPT_Px.private_seg_size, 0
	.set _Z17flag_tails_kernelIfiN10test_utils4lessELj256ELj1EEvPT_Px.uses_vcc, 1
	.set _Z17flag_tails_kernelIfiN10test_utils4lessELj256ELj1EEvPT_Px.uses_flat_scratch, 0
	.set _Z17flag_tails_kernelIfiN10test_utils4lessELj256ELj1EEvPT_Px.has_dyn_sized_stack, 0
	.set _Z17flag_tails_kernelIfiN10test_utils4lessELj256ELj1EEvPT_Px.has_recursion, 0
	.set _Z17flag_tails_kernelIfiN10test_utils4lessELj256ELj1EEvPT_Px.has_indirect_call, 0
	.section	.AMDGPU.csdata,"",@progbits
; Kernel info:
; codeLenInByte = 300
; TotalNumSgprs: 11
; NumVgprs: 4
; ScratchSize: 0
; MemoryBound: 0
; FloatMode: 240
; IeeeMode: 1
; LDSByteSize: 2048 bytes/workgroup (compile time only)
; SGPRBlocks: 0
; VGPRBlocks: 0
; NumSGPRsForWavesPerEU: 11
; NumVGPRsForWavesPerEU: 4
; NamedBarCnt: 0
; Occupancy: 16
; WaveLimiterHint : 0
; COMPUTE_PGM_RSRC2:SCRATCH_EN: 0
; COMPUTE_PGM_RSRC2:USER_SGPR: 2
; COMPUTE_PGM_RSRC2:TRAP_HANDLER: 0
; COMPUTE_PGM_RSRC2:TGID_X_EN: 1
; COMPUTE_PGM_RSRC2:TGID_Y_EN: 0
; COMPUTE_PGM_RSRC2:TGID_Z_EN: 0
; COMPUTE_PGM_RSRC2:TIDIG_COMP_CNT: 0
	.section	.text._Z17flag_tails_kernelIibN6hipcub10InequalityELj128ELj1EEvPT_Px,"axG",@progbits,_Z17flag_tails_kernelIibN6hipcub10InequalityELj128ELj1EEvPT_Px,comdat
	.protected	_Z17flag_tails_kernelIibN6hipcub10InequalityELj128ELj1EEvPT_Px ; -- Begin function _Z17flag_tails_kernelIibN6hipcub10InequalityELj128ELj1EEvPT_Px
	.globl	_Z17flag_tails_kernelIibN6hipcub10InequalityELj128ELj1EEvPT_Px
	.p2align	8
	.type	_Z17flag_tails_kernelIibN6hipcub10InequalityELj128ELj1EEvPT_Px,@function
_Z17flag_tails_kernelIibN6hipcub10InequalityELj128ELj1EEvPT_Px: ; @_Z17flag_tails_kernelIibN6hipcub10InequalityELj128ELj1EEvPT_Px
; %bb.0:
	s_load_b128 s[0:3], s[0:1], 0x0
	s_bfe_u32 s4, ttmp6, 0x4000c
	s_and_b32 s5, ttmp6, 15
	s_add_co_i32 s4, s4, 1
	s_getreg_b32 s6, hwreg(HW_REG_IB_STS2, 6, 4)
	s_mul_i32 s4, ttmp9, s4
	v_lshlrev_b32_e32 v2, 2, v0
	s_add_co_i32 s5, s5, s4
	s_cmp_eq_u32 s6, 0
	s_cselect_b32 s8, ttmp9, s5
	s_mov_b32 s5, 0
	s_lshl_b32 s4, s8, 7
	s_delay_alu instid0(SALU_CYCLE_1)
	s_lshl_b64 s[6:7], s[4:5], 2
	s_bitcmp1_b32 s8, 0
	s_wait_kmcnt 0x0
	s_add_nc_u64 s[6:7], s[0:1], s[6:7]
	s_cselect_b32 s0, -1, 0
	global_load_b32 v1, v0, s[6:7] scale_offset
	s_and_b32 vcc_lo, exec_lo, s0
	v_cmp_ne_u32_e64 s0, 0x7f, v0
	s_cbranch_vccz .LBB46_4
; %bb.1:
	s_mov_b32 s1, -1
	s_wait_loadcnt 0x0
	ds_store_b32 v2, v1 offset:512
	s_wait_dscnt 0x0
	s_barrier_signal -1
	s_barrier_wait -1
	s_and_saveexec_b32 s8, s0
	s_cbranch_execz .LBB46_3
; %bb.2:
	ds_load_b32 v3, v2 offset:516
	s_wait_dscnt 0x0
	v_cmp_ne_u32_e32 vcc_lo, v3, v1
	s_or_not1_b32 s1, vcc_lo, exec_lo
.LBB46_3:
	s_or_b32 exec_lo, exec_lo, s8
	s_cbranch_execz .LBB46_5
	s_branch .LBB46_8
.LBB46_4:
                                        ; implicit-def: $sgpr1
.LBB46_5:
	s_load_b32 s0, s[6:7], 0x200
	s_wait_loadcnt 0x0
	ds_store_b32 v2, v1 offset:512
	s_wait_dscnt 0x0
	s_barrier_signal -1
	s_barrier_wait -1
	s_wait_kmcnt 0x0
	v_mov_b32_e32 v3, s0
	s_mov_b32 s0, exec_lo
	v_cmpx_ne_u32_e32 0x7f, v0
; %bb.6:
	ds_load_b32 v3, v2 offset:516
; %bb.7:
	s_or_b32 exec_lo, exec_lo, s0
	s_wait_dscnt 0x0
	v_cmp_ne_u32_e64 s1, v3, v1
.LBB46_8:
	s_mov_b32 s0, 0
	s_delay_alu instid0(VALU_DEP_1) | instskip(SKIP_2) | instid1(SALU_CYCLE_1)
	v_cndmask_b32_e64 v2, 0, 1, s1
	v_mov_b32_e32 v3, s0
	s_lshl_b64 s[0:1], s[4:5], 3
	s_add_nc_u64 s[0:1], s[2:3], s[0:1]
	global_store_b64 v0, v[2:3], s[0:1] scale_offset
	s_endpgm
	.section	.rodata,"a",@progbits
	.p2align	6, 0x0
	.amdhsa_kernel _Z17flag_tails_kernelIibN6hipcub10InequalityELj128ELj1EEvPT_Px
		.amdhsa_group_segment_fixed_size 1024
		.amdhsa_private_segment_fixed_size 0
		.amdhsa_kernarg_size 16
		.amdhsa_user_sgpr_count 2
		.amdhsa_user_sgpr_dispatch_ptr 0
		.amdhsa_user_sgpr_queue_ptr 0
		.amdhsa_user_sgpr_kernarg_segment_ptr 1
		.amdhsa_user_sgpr_dispatch_id 0
		.amdhsa_user_sgpr_kernarg_preload_length 0
		.amdhsa_user_sgpr_kernarg_preload_offset 0
		.amdhsa_user_sgpr_private_segment_size 0
		.amdhsa_wavefront_size32 1
		.amdhsa_uses_dynamic_stack 0
		.amdhsa_enable_private_segment 0
		.amdhsa_system_sgpr_workgroup_id_x 1
		.amdhsa_system_sgpr_workgroup_id_y 0
		.amdhsa_system_sgpr_workgroup_id_z 0
		.amdhsa_system_sgpr_workgroup_info 0
		.amdhsa_system_vgpr_workitem_id 0
		.amdhsa_next_free_vgpr 4
		.amdhsa_next_free_sgpr 9
		.amdhsa_named_barrier_count 0
		.amdhsa_reserve_vcc 1
		.amdhsa_float_round_mode_32 0
		.amdhsa_float_round_mode_16_64 0
		.amdhsa_float_denorm_mode_32 3
		.amdhsa_float_denorm_mode_16_64 3
		.amdhsa_fp16_overflow 0
		.amdhsa_memory_ordered 1
		.amdhsa_forward_progress 1
		.amdhsa_inst_pref_size 3
		.amdhsa_round_robin_scheduling 0
		.amdhsa_exception_fp_ieee_invalid_op 0
		.amdhsa_exception_fp_denorm_src 0
		.amdhsa_exception_fp_ieee_div_zero 0
		.amdhsa_exception_fp_ieee_overflow 0
		.amdhsa_exception_fp_ieee_underflow 0
		.amdhsa_exception_fp_ieee_inexact 0
		.amdhsa_exception_int_div_zero 0
	.end_amdhsa_kernel
	.section	.text._Z17flag_tails_kernelIibN6hipcub10InequalityELj128ELj1EEvPT_Px,"axG",@progbits,_Z17flag_tails_kernelIibN6hipcub10InequalityELj128ELj1EEvPT_Px,comdat
.Lfunc_end46:
	.size	_Z17flag_tails_kernelIibN6hipcub10InequalityELj128ELj1EEvPT_Px, .Lfunc_end46-_Z17flag_tails_kernelIibN6hipcub10InequalityELj128ELj1EEvPT_Px
                                        ; -- End function
	.set _Z17flag_tails_kernelIibN6hipcub10InequalityELj128ELj1EEvPT_Px.num_vgpr, 4
	.set _Z17flag_tails_kernelIibN6hipcub10InequalityELj128ELj1EEvPT_Px.num_agpr, 0
	.set _Z17flag_tails_kernelIibN6hipcub10InequalityELj128ELj1EEvPT_Px.numbered_sgpr, 9
	.set _Z17flag_tails_kernelIibN6hipcub10InequalityELj128ELj1EEvPT_Px.num_named_barrier, 0
	.set _Z17flag_tails_kernelIibN6hipcub10InequalityELj128ELj1EEvPT_Px.private_seg_size, 0
	.set _Z17flag_tails_kernelIibN6hipcub10InequalityELj128ELj1EEvPT_Px.uses_vcc, 1
	.set _Z17flag_tails_kernelIibN6hipcub10InequalityELj128ELj1EEvPT_Px.uses_flat_scratch, 0
	.set _Z17flag_tails_kernelIibN6hipcub10InequalityELj128ELj1EEvPT_Px.has_dyn_sized_stack, 0
	.set _Z17flag_tails_kernelIibN6hipcub10InequalityELj128ELj1EEvPT_Px.has_recursion, 0
	.set _Z17flag_tails_kernelIibN6hipcub10InequalityELj128ELj1EEvPT_Px.has_indirect_call, 0
	.section	.AMDGPU.csdata,"",@progbits
; Kernel info:
; codeLenInByte = 300
; TotalNumSgprs: 11
; NumVgprs: 4
; ScratchSize: 0
; MemoryBound: 0
; FloatMode: 240
; IeeeMode: 1
; LDSByteSize: 1024 bytes/workgroup (compile time only)
; SGPRBlocks: 0
; VGPRBlocks: 0
; NumSGPRsForWavesPerEU: 11
; NumVGPRsForWavesPerEU: 4
; NamedBarCnt: 0
; Occupancy: 16
; WaveLimiterHint : 0
; COMPUTE_PGM_RSRC2:SCRATCH_EN: 0
; COMPUTE_PGM_RSRC2:USER_SGPR: 2
; COMPUTE_PGM_RSRC2:TRAP_HANDLER: 0
; COMPUTE_PGM_RSRC2:TGID_X_EN: 1
; COMPUTE_PGM_RSRC2:TGID_Y_EN: 0
; COMPUTE_PGM_RSRC2:TGID_Z_EN: 0
; COMPUTE_PGM_RSRC2:TIDIG_COMP_CNT: 0
	.section	.text._Z17flag_tails_kernelIjiN6hipcub8EqualityELj64ELj1EEvPT_Px,"axG",@progbits,_Z17flag_tails_kernelIjiN6hipcub8EqualityELj64ELj1EEvPT_Px,comdat
	.protected	_Z17flag_tails_kernelIjiN6hipcub8EqualityELj64ELj1EEvPT_Px ; -- Begin function _Z17flag_tails_kernelIjiN6hipcub8EqualityELj64ELj1EEvPT_Px
	.globl	_Z17flag_tails_kernelIjiN6hipcub8EqualityELj64ELj1EEvPT_Px
	.p2align	8
	.type	_Z17flag_tails_kernelIjiN6hipcub8EqualityELj64ELj1EEvPT_Px,@function
_Z17flag_tails_kernelIjiN6hipcub8EqualityELj64ELj1EEvPT_Px: ; @_Z17flag_tails_kernelIjiN6hipcub8EqualityELj64ELj1EEvPT_Px
; %bb.0:
	s_load_b128 s[0:3], s[0:1], 0x0
	s_bfe_u32 s4, ttmp6, 0x4000c
	s_and_b32 s5, ttmp6, 15
	s_add_co_i32 s4, s4, 1
	s_getreg_b32 s6, hwreg(HW_REG_IB_STS2, 6, 4)
	s_mul_i32 s4, ttmp9, s4
	v_lshlrev_b32_e32 v2, 2, v0
	s_add_co_i32 s5, s5, s4
	s_cmp_eq_u32 s6, 0
	s_cselect_b32 s8, ttmp9, s5
	s_mov_b32 s5, 0
	s_lshl_b32 s4, s8, 6
	s_delay_alu instid0(SALU_CYCLE_1)
	s_lshl_b64 s[6:7], s[4:5], 2
	s_bitcmp1_b32 s8, 0
	s_wait_kmcnt 0x0
	s_add_nc_u64 s[6:7], s[0:1], s[6:7]
	s_cselect_b32 s0, -1, 0
	global_load_b32 v1, v0, s[6:7] scale_offset
	s_and_b32 vcc_lo, exec_lo, s0
	v_cmp_ne_u32_e64 s0, 63, v0
	s_cbranch_vccz .LBB47_4
; %bb.1:
	s_mov_b32 s1, -1
	s_wait_loadcnt 0x0
	ds_store_b32 v2, v1 offset:256
	s_wait_dscnt 0x0
	s_barrier_signal -1
	s_barrier_wait -1
	s_and_saveexec_b32 s8, s0
	s_cbranch_execz .LBB47_3
; %bb.2:
	ds_load_b32 v3, v2 offset:260
	s_wait_dscnt 0x0
	v_cmp_eq_u32_e32 vcc_lo, v3, v1
	s_or_not1_b32 s1, vcc_lo, exec_lo
.LBB47_3:
	s_or_b32 exec_lo, exec_lo, s8
	s_cbranch_execz .LBB47_5
	s_branch .LBB47_8
.LBB47_4:
                                        ; implicit-def: $sgpr1
.LBB47_5:
	s_load_b32 s0, s[6:7], 0x100
	s_wait_loadcnt 0x0
	ds_store_b32 v2, v1 offset:256
	s_wait_dscnt 0x0
	s_barrier_signal -1
	s_barrier_wait -1
	s_wait_kmcnt 0x0
	v_mov_b32_e32 v3, s0
	s_mov_b32 s0, exec_lo
	v_cmpx_ne_u32_e32 63, v0
; %bb.6:
	ds_load_b32 v3, v2 offset:260
; %bb.7:
	s_or_b32 exec_lo, exec_lo, s0
	s_wait_dscnt 0x0
	v_cmp_eq_u32_e64 s1, v3, v1
.LBB47_8:
	s_mov_b32 s0, 0
	s_delay_alu instid0(VALU_DEP_1) | instskip(SKIP_2) | instid1(SALU_CYCLE_1)
	v_cndmask_b32_e64 v2, 0, 1, s1
	v_mov_b32_e32 v3, s0
	s_lshl_b64 s[0:1], s[4:5], 3
	s_add_nc_u64 s[0:1], s[2:3], s[0:1]
	global_store_b64 v0, v[2:3], s[0:1] scale_offset
	s_endpgm
	.section	.rodata,"a",@progbits
	.p2align	6, 0x0
	.amdhsa_kernel _Z17flag_tails_kernelIjiN6hipcub8EqualityELj64ELj1EEvPT_Px
		.amdhsa_group_segment_fixed_size 512
		.amdhsa_private_segment_fixed_size 0
		.amdhsa_kernarg_size 16
		.amdhsa_user_sgpr_count 2
		.amdhsa_user_sgpr_dispatch_ptr 0
		.amdhsa_user_sgpr_queue_ptr 0
		.amdhsa_user_sgpr_kernarg_segment_ptr 1
		.amdhsa_user_sgpr_dispatch_id 0
		.amdhsa_user_sgpr_kernarg_preload_length 0
		.amdhsa_user_sgpr_kernarg_preload_offset 0
		.amdhsa_user_sgpr_private_segment_size 0
		.amdhsa_wavefront_size32 1
		.amdhsa_uses_dynamic_stack 0
		.amdhsa_enable_private_segment 0
		.amdhsa_system_sgpr_workgroup_id_x 1
		.amdhsa_system_sgpr_workgroup_id_y 0
		.amdhsa_system_sgpr_workgroup_id_z 0
		.amdhsa_system_sgpr_workgroup_info 0
		.amdhsa_system_vgpr_workitem_id 0
		.amdhsa_next_free_vgpr 4
		.amdhsa_next_free_sgpr 9
		.amdhsa_named_barrier_count 0
		.amdhsa_reserve_vcc 1
		.amdhsa_float_round_mode_32 0
		.amdhsa_float_round_mode_16_64 0
		.amdhsa_float_denorm_mode_32 3
		.amdhsa_float_denorm_mode_16_64 3
		.amdhsa_fp16_overflow 0
		.amdhsa_memory_ordered 1
		.amdhsa_forward_progress 1
		.amdhsa_inst_pref_size 3
		.amdhsa_round_robin_scheduling 0
		.amdhsa_exception_fp_ieee_invalid_op 0
		.amdhsa_exception_fp_denorm_src 0
		.amdhsa_exception_fp_ieee_div_zero 0
		.amdhsa_exception_fp_ieee_overflow 0
		.amdhsa_exception_fp_ieee_underflow 0
		.amdhsa_exception_fp_ieee_inexact 0
		.amdhsa_exception_int_div_zero 0
	.end_amdhsa_kernel
	.section	.text._Z17flag_tails_kernelIjiN6hipcub8EqualityELj64ELj1EEvPT_Px,"axG",@progbits,_Z17flag_tails_kernelIjiN6hipcub8EqualityELj64ELj1EEvPT_Px,comdat
.Lfunc_end47:
	.size	_Z17flag_tails_kernelIjiN6hipcub8EqualityELj64ELj1EEvPT_Px, .Lfunc_end47-_Z17flag_tails_kernelIjiN6hipcub8EqualityELj64ELj1EEvPT_Px
                                        ; -- End function
	.set _Z17flag_tails_kernelIjiN6hipcub8EqualityELj64ELj1EEvPT_Px.num_vgpr, 4
	.set _Z17flag_tails_kernelIjiN6hipcub8EqualityELj64ELj1EEvPT_Px.num_agpr, 0
	.set _Z17flag_tails_kernelIjiN6hipcub8EqualityELj64ELj1EEvPT_Px.numbered_sgpr, 9
	.set _Z17flag_tails_kernelIjiN6hipcub8EqualityELj64ELj1EEvPT_Px.num_named_barrier, 0
	.set _Z17flag_tails_kernelIjiN6hipcub8EqualityELj64ELj1EEvPT_Px.private_seg_size, 0
	.set _Z17flag_tails_kernelIjiN6hipcub8EqualityELj64ELj1EEvPT_Px.uses_vcc, 1
	.set _Z17flag_tails_kernelIjiN6hipcub8EqualityELj64ELj1EEvPT_Px.uses_flat_scratch, 0
	.set _Z17flag_tails_kernelIjiN6hipcub8EqualityELj64ELj1EEvPT_Px.has_dyn_sized_stack, 0
	.set _Z17flag_tails_kernelIjiN6hipcub8EqualityELj64ELj1EEvPT_Px.has_recursion, 0
	.set _Z17flag_tails_kernelIjiN6hipcub8EqualityELj64ELj1EEvPT_Px.has_indirect_call, 0
	.section	.AMDGPU.csdata,"",@progbits
; Kernel info:
; codeLenInByte = 292
; TotalNumSgprs: 11
; NumVgprs: 4
; ScratchSize: 0
; MemoryBound: 0
; FloatMode: 240
; IeeeMode: 1
; LDSByteSize: 512 bytes/workgroup (compile time only)
; SGPRBlocks: 0
; VGPRBlocks: 0
; NumSGPRsForWavesPerEU: 11
; NumVGPRsForWavesPerEU: 4
; NamedBarCnt: 0
; Occupancy: 16
; WaveLimiterHint : 0
; COMPUTE_PGM_RSRC2:SCRATCH_EN: 0
; COMPUTE_PGM_RSRC2:USER_SGPR: 2
; COMPUTE_PGM_RSRC2:TRAP_HANDLER: 0
; COMPUTE_PGM_RSRC2:TGID_X_EN: 1
; COMPUTE_PGM_RSRC2:TGID_Y_EN: 0
; COMPUTE_PGM_RSRC2:TGID_Z_EN: 0
; COMPUTE_PGM_RSRC2:TIDIG_COMP_CNT: 0
	.section	.text._Z27flag_heads_and_tails_kernelIsb15custom_flag_op1IsELj234ELj9EEvPT_PxS4_,"axG",@progbits,_Z27flag_heads_and_tails_kernelIsb15custom_flag_op1IsELj234ELj9EEvPT_PxS4_,comdat
	.protected	_Z27flag_heads_and_tails_kernelIsb15custom_flag_op1IsELj234ELj9EEvPT_PxS4_ ; -- Begin function _Z27flag_heads_and_tails_kernelIsb15custom_flag_op1IsELj234ELj9EEvPT_PxS4_
	.globl	_Z27flag_heads_and_tails_kernelIsb15custom_flag_op1IsELj234ELj9EEvPT_PxS4_
	.p2align	8
	.type	_Z27flag_heads_and_tails_kernelIsb15custom_flag_op1IsELj234ELj9EEvPT_PxS4_,@function
_Z27flag_heads_and_tails_kernelIsb15custom_flag_op1IsELj234ELj9EEvPT_PxS4_: ; @_Z27flag_heads_and_tails_kernelIsb15custom_flag_op1IsELj234ELj9EEvPT_PxS4_
; %bb.0:
	s_clause 0x1
	s_load_b128 s[8:11], s[0:1], 0x0
	s_load_b64 s[12:13], s[0:1], 0x10
	s_bfe_u32 s2, ttmp6, 0x4000c
	s_and_b32 s3, ttmp6, 15
	s_add_co_i32 s2, s2, 1
	s_getreg_b32 s4, hwreg(HW_REG_IB_STS2, 6, 4)
	s_mul_i32 s2, ttmp9, s2
	v_mul_u32_u24_e32 v1, 9, v0
	s_add_co_i32 s3, s3, s2
	s_cmp_eq_u32 s4, 0
	s_mov_b32 s15, 0
	s_cselect_b32 s4, ttmp9, s3
	v_lshlrev_b32_e32 v7, 1, v1
	s_mul_i32 s14, s4, 0x83a
	s_and_b32 s16, s4, 3
	s_lshl_b64 s[2:3], s[14:15], 1
	s_cmp_lt_i32 s16, 2
	s_wait_kmcnt 0x0
	s_add_nc_u64 s[0:1], s[8:9], s[2:3]
	s_clause 0x1
	global_load_b128 v[2:5], v7, s[0:1]
	global_load_u16 v6, v1, s[0:1] offset:16 scale_offset
	s_wait_loadcnt 0x1
	s_wait_xcnt 0x1
	v_dual_lshrrev_b32 v7, 16, v2 :: v_dual_lshrrev_b32 v9, 16, v4
	v_dual_lshrrev_b32 v8, 16, v3 :: v_dual_lshrrev_b32 v10, 16, v5
	s_cbranch_scc1 .LBB48_44
; %bb.1:
	s_cmp_gt_i32 s16, 2
	s_cbranch_scc0 .LBB48_45
; %bb.2:
	v_lshlrev_b32_e32 v11, 1, v0
	s_wait_loadcnt 0x0
	v_cmp_ne_u16_e32 vcc_lo, v6, v10
	s_mov_b32 s18, -1
	s_mov_b32 s17, -1
	ds_store_b16 v11, v6
	s_and_saveexec_b32 s1, vcc_lo
; %bb.3:
	s_movk_i32 s0, 0xcccd
	s_delay_alu instid0(SALU_CYCLE_1) | instskip(NEXT) | instid1(VALU_DEP_1)
	v_mad_u16 v12, v1, s0, 0x6668
	v_lshlrev_b16 v13, 15, v12
	v_lshrrev_b16 v12, 1, v12
	s_delay_alu instid0(VALU_DEP_1) | instskip(NEXT) | instid1(VALU_DEP_1)
	v_or_b32_e32 v12, v12, v13
	v_cmp_gt_u16_e64 s0, 0x199a, v12
	s_or_not1_b32 s17, s0, exec_lo
; %bb.4:
	s_or_b32 exec_lo, exec_lo, s1
	v_cmp_ne_u16_e64 s0, v10, v5
	s_and_saveexec_b32 s2, s0
; %bb.5:
	s_movk_i32 s1, 0xcccd
	s_delay_alu instid0(SALU_CYCLE_1) | instskip(NEXT) | instid1(VALU_DEP_1)
	v_mad_u16 v12, v1, s1, 0x999b
	v_lshlrev_b16 v13, 15, v12
	v_lshrrev_b16 v12, 1, v12
	s_delay_alu instid0(VALU_DEP_1) | instskip(NEXT) | instid1(VALU_DEP_1)
	v_or_b32_e32 v12, v12, v13
	v_cmp_gt_u16_e64 s1, 0x199a, v12
	s_or_not1_b32 s18, s1, exec_lo
; %bb.6:
	s_or_b32 exec_lo, exec_lo, s2
	v_cmp_ne_u16_e64 s1, v5, v9
	s_mov_b32 s20, -1
	s_mov_b32 s19, -1
	s_and_saveexec_b32 s3, s1
; %bb.7:
	s_movk_i32 s2, 0xcccd
	s_delay_alu instid0(SALU_CYCLE_1) | instskip(NEXT) | instid1(VALU_DEP_1)
	v_mad_u16 v12, v1, s2, 0xccce
	v_lshlrev_b16 v13, 15, v12
	v_lshrrev_b16 v12, 1, v12
	s_delay_alu instid0(VALU_DEP_1) | instskip(NEXT) | instid1(VALU_DEP_1)
	v_or_b32_e32 v12, v12, v13
	v_cmp_gt_u16_e64 s2, 0x199a, v12
	s_or_not1_b32 s19, s2, exec_lo
; %bb.8:
	s_or_b32 exec_lo, exec_lo, s3
	v_cmp_ne_u16_e64 s2, v9, v4
	s_and_saveexec_b32 s4, s2
; %bb.9:
	v_mad_u16 v12, 0xcccd, v1, 1
	s_delay_alu instid0(VALU_DEP_1) | instskip(SKIP_1) | instid1(VALU_DEP_1)
	v_lshlrev_b16 v13, 15, v12
	v_lshrrev_b16 v12, 1, v12
	v_or_b32_e32 v12, v12, v13
	s_delay_alu instid0(VALU_DEP_1)
	v_cmp_gt_u16_e64 s3, 0x199a, v12
	s_or_not1_b32 s20, s3, exec_lo
; %bb.10:
	s_or_b32 exec_lo, exec_lo, s4
	v_cmp_ne_u16_e64 s3, v4, v8
	s_mov_b32 s22, -1
	s_mov_b32 s21, -1
	s_and_saveexec_b32 s5, s3
; %bb.11:
	s_movk_i32 s4, 0xcccd
	s_delay_alu instid0(SALU_CYCLE_1) | instskip(NEXT) | instid1(VALU_DEP_1)
	v_mad_u16 v12, v1, s4, 0x3334
	v_lshlrev_b16 v13, 15, v12
	v_lshrrev_b16 v12, 1, v12
	s_delay_alu instid0(VALU_DEP_1) | instskip(NEXT) | instid1(VALU_DEP_1)
	v_or_b32_e32 v12, v12, v13
	v_cmp_gt_u16_e64 s4, 0x199a, v12
	s_or_not1_b32 s21, s4, exec_lo
; %bb.12:
	s_or_b32 exec_lo, exec_lo, s5
	v_cmp_ne_u16_e64 s4, v8, v3
	s_and_saveexec_b32 s6, s4
; %bb.13:
	s_movk_i32 s5, 0xcccd
	s_delay_alu instid0(SALU_CYCLE_1) | instskip(NEXT) | instid1(VALU_DEP_1)
	v_mad_u16 v12, v1, s5, 0x6667
	v_lshlrev_b16 v13, 15, v12
	v_lshrrev_b16 v12, 1, v12
	s_delay_alu instid0(VALU_DEP_1) | instskip(NEXT) | instid1(VALU_DEP_1)
	v_or_b32_e32 v12, v12, v13
	v_cmp_gt_u16_e64 s5, 0x199a, v12
	s_or_not1_b32 s22, s5, exec_lo
; %bb.14:
	s_or_b32 exec_lo, exec_lo, s6
	v_cmp_ne_u16_e64 s5, v3, v7
	s_mov_b32 s7, -1
	s_mov_b32 s23, -1
	s_and_saveexec_b32 s24, s5
; %bb.15:
	s_movk_i32 s6, 0xcccd
	s_delay_alu instid0(SALU_CYCLE_1) | instskip(NEXT) | instid1(VALU_DEP_1)
	v_mad_u16 v12, v1, s6, 0x999a
	v_lshlrev_b16 v13, 15, v12
	v_lshrrev_b16 v12, 1, v12
	s_delay_alu instid0(VALU_DEP_1) | instskip(NEXT) | instid1(VALU_DEP_1)
	v_or_b32_e32 v12, v12, v13
	v_cmp_gt_u16_e64 s6, 0x199a, v12
	s_or_not1_b32 s23, s6, exec_lo
; %bb.16:
	s_or_b32 exec_lo, exec_lo, s24
	v_cmp_ne_u16_e64 s6, v7, v2
	s_and_saveexec_b32 s24, s6
; %bb.17:
	v_mad_u16 v12, 0xcccd, v1, 0xcccd
	s_delay_alu instid0(VALU_DEP_1) | instskip(SKIP_1) | instid1(VALU_DEP_1)
	v_lshlrev_b16 v13, 15, v12
	v_lshrrev_b16 v12, 1, v12
	v_or_b32_e32 v12, v12, v13
	s_delay_alu instid0(VALU_DEP_1)
	v_cmp_gt_u16_e64 s7, 0x199a, v12
	s_or_not1_b32 s7, s7, exec_lo
; %bb.18:
	s_or_b32 exec_lo, exec_lo, s24
	v_cndmask_b32_e64 v13, 0, 1, s22
	v_cndmask_b32_e64 v16, 0, 1, s20
	;; [unrolled: 1-line block ×7, first 2 shown]
	v_lshlrev_b16 v13, 8, v13
	v_lshlrev_b16 v16, 8, v16
	;; [unrolled: 1-line block ×4, first 2 shown]
	s_mov_b32 s18, exec_lo
	v_or_b32_e32 v12, v12, v13
	v_or_b32_e32 v13, v15, v16
	;; [unrolled: 1-line block ×3, first 2 shown]
	s_wait_dscnt 0x0
	s_barrier_signal -1
	s_barrier_wait -1
	v_and_b32_e32 v16, 0xffff, v13
	v_dual_lshlrev_b32 v15, 16, v15 :: v_dual_bitop2_b32 v14, 1, v14 bitop3:0x54
	v_lshlrev_b32_e32 v12, 16, v12
	s_delay_alu instid0(VALU_DEP_2) | instskip(NEXT) | instid1(VALU_DEP_1)
	v_and_b32_e32 v14, 0xffff, v14
	v_or_b32_e32 v13, v14, v12
	s_delay_alu instid0(VALU_DEP_4)
	v_or_b32_e32 v12, v16, v15
	v_cmpx_ne_u32_e32 0, v0
	s_cbranch_execz .LBB48_22
; %bb.19:
	v_add_nc_u32_e32 v14, -2, v11
	s_mov_b32 s19, -1
	s_mov_b32 s20, exec_lo
	ds_load_u16 v14, v14
	s_wait_dscnt 0x0
	v_cmpx_ne_u16_e64 v2, v14
; %bb.20:
	v_mul_lo_u16 v14, 0xcccd, v1
	s_delay_alu instid0(VALU_DEP_1) | instskip(SKIP_1) | instid1(VALU_DEP_1)
	v_lshlrev_b16 v15, 15, v14
	v_lshrrev_b16 v14, 1, v14
	v_or_b32_e32 v14, v14, v15
	s_delay_alu instid0(VALU_DEP_1)
	v_cmp_gt_u16_e64 s7, 0x199a, v14
	s_or_not1_b32 s19, s7, exec_lo
; %bb.21:
	s_or_b32 exec_lo, exec_lo, s20
	v_dual_lshrrev_b32 v14, 24, v13 :: v_dual_lshrrev_b32 v15, 8, v13
	v_cndmask_b32_e64 v16, 0, 1, s19
	s_delay_alu instid0(VALU_DEP_2) | instskip(NEXT) | instid1(VALU_DEP_3)
	v_lshlrev_b16 v14, 8, v14
	v_lshlrev_b16 v15, 8, v15
	v_lshrrev_b32_e32 v13, 16, v13
	s_delay_alu instid0(VALU_DEP_1) | instskip(NEXT) | instid1(VALU_DEP_1)
	v_bitop3_b16 v13, v13, v14, 0xff bitop3:0xec
	v_dual_lshlrev_b32 v13, 16, v13 :: v_dual_bitop2_b32 v14, v16, v15 bitop3:0x54
	s_delay_alu instid0(VALU_DEP_1) | instskip(NEXT) | instid1(VALU_DEP_1)
	v_and_b32_e32 v14, 0xffff, v14
	v_or_b32_e32 v13, v14, v13
.LBB48_22:
	s_or_b32 exec_lo, exec_lo, s18
	v_cndmask_b32_e64 v14, 0, 1, s17
	s_mov_b32 s17, -1
	s_mov_b32 s7, -1
	ds_store_b16 v11, v2 offset:468
	s_and_saveexec_b32 s18, s6
; %bb.23:
	v_mad_u16 v15, 0xcccd, v1, 0xcccd
	s_delay_alu instid0(VALU_DEP_1) | instskip(SKIP_1) | instid1(VALU_DEP_1)
	v_lshlrev_b16 v16, 15, v15
	v_lshrrev_b16 v15, 1, v15
	v_or_b32_e32 v15, v15, v16
	s_delay_alu instid0(VALU_DEP_1)
	v_cmp_gt_u16_e64 s6, 0x199a, v15
	s_or_not1_b32 s7, s6, exec_lo
; %bb.24:
	s_or_b32 exec_lo, exec_lo, s18
	s_and_saveexec_b32 s6, s5
; %bb.25:
	s_movk_i32 s5, 0xcccd
	s_delay_alu instid0(SALU_CYCLE_1) | instskip(NEXT) | instid1(VALU_DEP_1)
	v_mad_u16 v15, v1, s5, 0x999a
	v_lshlrev_b16 v16, 15, v15
	v_lshrrev_b16 v15, 1, v15
	s_delay_alu instid0(VALU_DEP_1) | instskip(NEXT) | instid1(VALU_DEP_1)
	v_or_b32_e32 v15, v15, v16
	v_cmp_gt_u16_e64 s5, 0x199a, v15
	s_or_not1_b32 s17, s5, exec_lo
; %bb.26:
	s_or_b32 exec_lo, exec_lo, s6
	s_mov_b32 s6, -1
	s_mov_b32 s5, -1
	s_and_saveexec_b32 s18, s4
; %bb.27:
	s_movk_i32 s4, 0xcccd
	s_delay_alu instid0(SALU_CYCLE_1) | instskip(NEXT) | instid1(VALU_DEP_1)
	v_mad_u16 v15, v1, s4, 0x6667
	v_lshlrev_b16 v16, 15, v15
	v_lshrrev_b16 v15, 1, v15
	s_delay_alu instid0(VALU_DEP_1) | instskip(NEXT) | instid1(VALU_DEP_1)
	v_or_b32_e32 v15, v15, v16
	v_cmp_gt_u16_e64 s4, 0x199a, v15
	s_or_not1_b32 s5, s4, exec_lo
; %bb.28:
	s_or_b32 exec_lo, exec_lo, s18
	s_and_saveexec_b32 s4, s3
; %bb.29:
	s_movk_i32 s3, 0xcccd
	s_delay_alu instid0(SALU_CYCLE_1) | instskip(NEXT) | instid1(VALU_DEP_1)
	v_mad_u16 v15, v1, s3, 0x3334
	v_lshlrev_b16 v16, 15, v15
	v_lshrrev_b16 v15, 1, v15
	s_delay_alu instid0(VALU_DEP_1) | instskip(NEXT) | instid1(VALU_DEP_1)
	v_or_b32_e32 v15, v15, v16
	v_cmp_gt_u16_e64 s3, 0x199a, v15
	s_or_not1_b32 s6, s3, exec_lo
; %bb.30:
	s_or_b32 exec_lo, exec_lo, s4
	s_mov_b32 s4, -1
	s_mov_b32 s3, -1
	s_and_saveexec_b32 s18, s2
; %bb.31:
	v_mad_u16 v15, 0xcccd, v1, 1
	s_delay_alu instid0(VALU_DEP_1) | instskip(SKIP_1) | instid1(VALU_DEP_1)
	v_lshlrev_b16 v16, 15, v15
	v_lshrrev_b16 v15, 1, v15
	v_or_b32_e32 v15, v15, v16
	s_delay_alu instid0(VALU_DEP_1)
	v_cmp_gt_u16_e64 s2, 0x199a, v15
	s_or_not1_b32 s3, s2, exec_lo
; %bb.32:
	s_or_b32 exec_lo, exec_lo, s18
	s_and_saveexec_b32 s2, s1
; %bb.33:
	s_movk_i32 s1, 0xcccd
	s_delay_alu instid0(SALU_CYCLE_1) | instskip(NEXT) | instid1(VALU_DEP_1)
	v_mad_u16 v15, v1, s1, 0xccce
	v_lshlrev_b16 v16, 15, v15
	v_lshrrev_b16 v15, 1, v15
	s_delay_alu instid0(VALU_DEP_1) | instskip(NEXT) | instid1(VALU_DEP_1)
	v_or_b32_e32 v15, v15, v16
	v_cmp_gt_u16_e64 s1, 0x199a, v15
	s_or_not1_b32 s4, s1, exec_lo
; %bb.34:
	s_or_b32 exec_lo, exec_lo, s2
	s_mov_b32 s1, -1
	s_mov_b32 s2, -1
	s_and_saveexec_b32 s18, s0
; %bb.35:
	s_movk_i32 s0, 0xcccd
	s_delay_alu instid0(SALU_CYCLE_1) | instskip(NEXT) | instid1(VALU_DEP_1)
	v_mad_u16 v15, v1, s0, 0x999b
	v_lshlrev_b16 v16, 15, v15
	v_lshrrev_b16 v15, 1, v15
	s_delay_alu instid0(VALU_DEP_1) | instskip(NEXT) | instid1(VALU_DEP_1)
	v_or_b32_e32 v15, v15, v16
	v_cmp_gt_u16_e64 s0, 0x199a, v15
	s_or_not1_b32 s2, s0, exec_lo
; %bb.36:
	s_or_b32 exec_lo, exec_lo, s18
	s_and_saveexec_b32 s0, vcc_lo
; %bb.37:
	s_movk_i32 s1, 0xcccd
	s_delay_alu instid0(SALU_CYCLE_1) | instskip(NEXT) | instid1(VALU_DEP_1)
	v_mad_u16 v15, v1, s1, 0x6668
	v_lshlrev_b16 v16, 15, v15
	v_lshrrev_b16 v15, 1, v15
	s_delay_alu instid0(VALU_DEP_1) | instskip(NEXT) | instid1(VALU_DEP_1)
	v_or_b32_e32 v15, v15, v16
	v_cmp_gt_u16_e32 vcc_lo, 0x199a, v15
	s_or_not1_b32 s1, vcc_lo, exec_lo
; %bb.38:
	s_or_b32 exec_lo, exec_lo, s0
	v_cndmask_b32_e64 v16, 0, 1, s4
	v_cndmask_b32_e64 v18, 0, 1, s17
	;; [unrolled: 1-line block ×8, first 2 shown]
	v_lshlrev_b16 v18, 8, v18
	v_lshlrev_b16 v19, 8, v19
	;; [unrolled: 1-line block ×4, first 2 shown]
	s_mov_b32 s0, exec_lo
	s_wait_dscnt 0x0
	v_or_b32_e32 v19, v20, v19
	v_or_b32_e32 v16, v17, v16
	;; [unrolled: 1-line block ×4, first 2 shown]
	s_barrier_signal -1
	s_barrier_wait -1
	s_delay_alu instid0(VALU_DEP_2) | instskip(NEXT) | instid1(VALU_DEP_2)
	v_lshlrev_b32_e32 v15, 16, v15
	v_and_b32_e32 v17, 0xffff, v18
	v_lshlrev_b32_e32 v18, 16, v19
	v_and_b32_e32 v19, 0xffff, v16
	s_delay_alu instid0(VALU_DEP_2) | instskip(NEXT) | instid1(VALU_DEP_2)
	v_or_b32_e32 v16, v17, v18
	v_dual_mov_b32 v17, 1 :: v_dual_bitop2_b32 v15, v19, v15 bitop3:0x54
	v_cmpx_ne_u32_e32 0xe9, v0
	s_cbranch_execz .LBB48_42
; %bb.39:
	ds_load_u16 v11, v11 offset:470
	s_mov_b32 s2, -1
	s_mov_b32 s1, exec_lo
	s_wait_dscnt 0x0
	v_cmpx_ne_u16_e64 v11, v6
; %bb.40:
	s_movk_i32 s2, 0xcccd
	s_delay_alu instid0(SALU_CYCLE_1) | instskip(NEXT) | instid1(VALU_DEP_1)
	v_mad_u16 v11, v1, s2, 0x3335
	v_lshlrev_b16 v17, 15, v11
	v_lshrrev_b16 v11, 1, v11
	s_delay_alu instid0(VALU_DEP_1) | instskip(NEXT) | instid1(VALU_DEP_1)
	v_or_b32_e32 v11, v11, v17
	v_cmp_gt_u16_e32 vcc_lo, 0x199a, v11
	s_or_not1_b32 s2, vcc_lo, exec_lo
; %bb.41:
	s_or_b32 exec_lo, exec_lo, s1
	v_cndmask_b32_e64 v17, 0, 1, s2
.LBB48_42:
	s_or_b32 exec_lo, exec_lo, s0
.LBB48_43:
	s_cbranch_execz .LBB48_85
	s_branch .LBB48_167
.LBB48_44:
	s_wait_xcnt 0x0
                                        ; implicit-def: $vgpr14
                                        ; implicit-def: $vgpr12
                                        ; implicit-def: $vgpr13
                                        ; implicit-def: $vgpr17
                                        ; implicit-def: $vgpr15
                                        ; implicit-def: $vgpr16
	s_branch .LBB48_85
.LBB48_45:
	s_wait_xcnt 0x0
                                        ; implicit-def: $vgpr14
                                        ; implicit-def: $vgpr12
                                        ; implicit-def: $vgpr13
                                        ; implicit-def: $vgpr17
                                        ; implicit-def: $vgpr15
                                        ; implicit-def: $vgpr16
	s_cbranch_execz .LBB48_43
; %bb.46:
	s_add_co_i32 s0, s14, -1
	s_wait_loadcnt 0x0
	v_cmp_ne_u16_e32 vcc_lo, v6, v10
	v_mov_b32_e32 v11, s0
	s_mov_b32 s18, -1
	s_mov_b32 s17, -1
	global_load_u16 v12, v11, s[8:9] scale_offset
	s_wait_xcnt 0x0
	v_lshlrev_b32_e32 v11, 1, v0
	ds_store_b16 v11, v6
	s_and_saveexec_b32 s1, vcc_lo
; %bb.47:
	s_movk_i32 s0, 0xcccd
	s_delay_alu instid0(SALU_CYCLE_1) | instskip(NEXT) | instid1(VALU_DEP_1)
	v_mad_u16 v13, v1, s0, 0x6668
	v_lshlrev_b16 v14, 15, v13
	v_lshrrev_b16 v13, 1, v13
	s_delay_alu instid0(VALU_DEP_1) | instskip(NEXT) | instid1(VALU_DEP_1)
	v_or_b32_e32 v13, v13, v14
	v_cmp_gt_u16_e64 s0, 0x199a, v13
	s_or_not1_b32 s17, s0, exec_lo
; %bb.48:
	s_or_b32 exec_lo, exec_lo, s1
	v_cmp_ne_u16_e64 s0, v10, v5
	s_and_saveexec_b32 s2, s0
; %bb.49:
	s_movk_i32 s1, 0xcccd
	s_delay_alu instid0(SALU_CYCLE_1) | instskip(NEXT) | instid1(VALU_DEP_1)
	v_mad_u16 v13, v1, s1, 0x999b
	v_lshlrev_b16 v14, 15, v13
	v_lshrrev_b16 v13, 1, v13
	s_delay_alu instid0(VALU_DEP_1) | instskip(NEXT) | instid1(VALU_DEP_1)
	v_or_b32_e32 v13, v13, v14
	v_cmp_gt_u16_e64 s1, 0x199a, v13
	s_or_not1_b32 s18, s1, exec_lo
; %bb.50:
	s_or_b32 exec_lo, exec_lo, s2
	v_cmp_ne_u16_e64 s1, v5, v9
	s_mov_b32 s20, -1
	s_mov_b32 s19, -1
	s_and_saveexec_b32 s3, s1
; %bb.51:
	s_movk_i32 s2, 0xcccd
	s_delay_alu instid0(SALU_CYCLE_1) | instskip(NEXT) | instid1(VALU_DEP_1)
	v_mad_u16 v13, v1, s2, 0xccce
	v_lshlrev_b16 v14, 15, v13
	v_lshrrev_b16 v13, 1, v13
	s_delay_alu instid0(VALU_DEP_1) | instskip(NEXT) | instid1(VALU_DEP_1)
	v_or_b32_e32 v13, v13, v14
	v_cmp_gt_u16_e64 s2, 0x199a, v13
	s_or_not1_b32 s19, s2, exec_lo
; %bb.52:
	s_or_b32 exec_lo, exec_lo, s3
	v_cmp_ne_u16_e64 s2, v9, v4
	s_and_saveexec_b32 s4, s2
; %bb.53:
	v_mad_u16 v13, 0xcccd, v1, 1
	s_delay_alu instid0(VALU_DEP_1) | instskip(SKIP_1) | instid1(VALU_DEP_1)
	v_lshlrev_b16 v14, 15, v13
	v_lshrrev_b16 v13, 1, v13
	v_or_b32_e32 v13, v13, v14
	s_delay_alu instid0(VALU_DEP_1)
	v_cmp_gt_u16_e64 s3, 0x199a, v13
	s_or_not1_b32 s20, s3, exec_lo
; %bb.54:
	s_or_b32 exec_lo, exec_lo, s4
	v_cmp_ne_u16_e64 s3, v4, v8
	s_mov_b32 s22, -1
	s_mov_b32 s21, -1
	s_and_saveexec_b32 s5, s3
; %bb.55:
	s_movk_i32 s4, 0xcccd
	s_delay_alu instid0(SALU_CYCLE_1) | instskip(NEXT) | instid1(VALU_DEP_1)
	v_mad_u16 v13, v1, s4, 0x3334
	v_lshlrev_b16 v14, 15, v13
	v_lshrrev_b16 v13, 1, v13
	s_delay_alu instid0(VALU_DEP_1) | instskip(NEXT) | instid1(VALU_DEP_1)
	v_or_b32_e32 v13, v13, v14
	v_cmp_gt_u16_e64 s4, 0x199a, v13
	s_or_not1_b32 s21, s4, exec_lo
; %bb.56:
	s_or_b32 exec_lo, exec_lo, s5
	v_cmp_ne_u16_e64 s4, v8, v3
	s_and_saveexec_b32 s6, s4
; %bb.57:
	s_movk_i32 s5, 0xcccd
	s_delay_alu instid0(SALU_CYCLE_1) | instskip(NEXT) | instid1(VALU_DEP_1)
	v_mad_u16 v13, v1, s5, 0x6667
	v_lshlrev_b16 v14, 15, v13
	v_lshrrev_b16 v13, 1, v13
	s_delay_alu instid0(VALU_DEP_1) | instskip(NEXT) | instid1(VALU_DEP_1)
	v_or_b32_e32 v13, v13, v14
	v_cmp_gt_u16_e64 s5, 0x199a, v13
	s_or_not1_b32 s22, s5, exec_lo
; %bb.58:
	s_or_b32 exec_lo, exec_lo, s6
	v_cmp_ne_u16_e64 s5, v3, v7
	s_mov_b32 s23, -1
	s_mov_b32 s24, -1
	s_and_saveexec_b32 s7, s5
; %bb.59:
	s_movk_i32 s6, 0xcccd
	s_delay_alu instid0(SALU_CYCLE_1) | instskip(NEXT) | instid1(VALU_DEP_1)
	v_mad_u16 v13, v1, s6, 0x999a
	v_lshlrev_b16 v14, 15, v13
	v_lshrrev_b16 v13, 1, v13
	s_delay_alu instid0(VALU_DEP_1) | instskip(NEXT) | instid1(VALU_DEP_1)
	v_or_b32_e32 v13, v13, v14
	v_cmp_gt_u16_e64 s6, 0x199a, v13
	s_or_not1_b32 s24, s6, exec_lo
; %bb.60:
	s_or_b32 exec_lo, exec_lo, s7
	v_cmp_ne_u16_e64 s6, v7, v2
	s_and_saveexec_b32 s25, s6
; %bb.61:
	v_mad_u16 v13, 0xcccd, v1, 0xcccd
	s_delay_alu instid0(VALU_DEP_1) | instskip(SKIP_1) | instid1(VALU_DEP_1)
	v_lshlrev_b16 v14, 15, v13
	v_lshrrev_b16 v13, 1, v13
	v_or_b32_e32 v13, v13, v14
	s_delay_alu instid0(VALU_DEP_1)
	v_cmp_gt_u16_e64 s7, 0x199a, v13
	s_or_not1_b32 s23, s7, exec_lo
; %bb.62:
	s_or_b32 exec_lo, exec_lo, s25
	s_delay_alu instid0(SALU_CYCLE_1)
	s_mov_b32 s25, exec_lo
	s_wait_loadcnt_dscnt 0x0
	s_barrier_signal -1
	s_barrier_wait -1
	v_cmpx_ne_u32_e32 0, v0
; %bb.63:
	v_add_nc_u32_e32 v12, -2, v11
	ds_load_u16 v12, v12
; %bb.64:
	s_or_b32 exec_lo, exec_lo, s25
	s_mov_b32 s26, -1
	s_mov_b32 s25, -1
	s_mov_b32 s27, exec_lo
	s_wait_dscnt 0x0
	v_cmpx_ne_u16_e64 v2, v12
; %bb.65:
	v_mul_lo_u16 v12, 0xcccd, v1
	s_delay_alu instid0(VALU_DEP_1) | instskip(SKIP_1) | instid1(VALU_DEP_1)
	v_lshlrev_b16 v13, 15, v12
	v_lshrrev_b16 v12, 1, v12
	v_or_b32_e32 v12, v12, v13
	s_delay_alu instid0(VALU_DEP_1)
	v_cmp_gt_u16_e64 s7, 0x199a, v12
	s_or_not1_b32 s25, s7, exec_lo
; %bb.66:
	s_or_b32 exec_lo, exec_lo, s27
	ds_store_b16 v11, v2 offset:468
	s_and_saveexec_b32 s7, s6
; %bb.67:
	v_mad_u16 v12, 0xcccd, v1, 0xcccd
	s_delay_alu instid0(VALU_DEP_1) | instskip(SKIP_1) | instid1(VALU_DEP_1)
	v_lshlrev_b16 v13, 15, v12
	v_lshrrev_b16 v12, 1, v12
	v_or_b32_e32 v12, v12, v13
	s_delay_alu instid0(VALU_DEP_1)
	v_cmp_gt_u16_e64 s6, 0x199a, v12
	s_or_not1_b32 s26, s6, exec_lo
; %bb.68:
	s_or_b32 exec_lo, exec_lo, s7
	s_mov_b32 s7, -1
	s_mov_b32 s6, -1
	s_and_saveexec_b32 s27, s5
; %bb.69:
	s_movk_i32 s5, 0xcccd
	s_delay_alu instid0(SALU_CYCLE_1) | instskip(NEXT) | instid1(VALU_DEP_1)
	v_mad_u16 v12, v1, s5, 0x999a
	v_lshlrev_b16 v13, 15, v12
	v_lshrrev_b16 v12, 1, v12
	s_delay_alu instid0(VALU_DEP_1) | instskip(NEXT) | instid1(VALU_DEP_1)
	v_or_b32_e32 v12, v12, v13
	v_cmp_gt_u16_e64 s5, 0x199a, v12
	s_or_not1_b32 s6, s5, exec_lo
; %bb.70:
	s_or_b32 exec_lo, exec_lo, s27
	s_and_saveexec_b32 s5, s4
; %bb.71:
	s_movk_i32 s4, 0xcccd
	s_delay_alu instid0(SALU_CYCLE_1) | instskip(NEXT) | instid1(VALU_DEP_1)
	v_mad_u16 v12, v1, s4, 0x6667
	v_lshlrev_b16 v13, 15, v12
	v_lshrrev_b16 v12, 1, v12
	s_delay_alu instid0(VALU_DEP_1) | instskip(NEXT) | instid1(VALU_DEP_1)
	v_or_b32_e32 v12, v12, v13
	v_cmp_gt_u16_e64 s4, 0x199a, v12
	s_or_not1_b32 s7, s4, exec_lo
; %bb.72:
	s_or_b32 exec_lo, exec_lo, s5
	s_mov_b32 s4, -1
	s_mov_b32 s5, -1
	s_and_saveexec_b32 s27, s3
; %bb.73:
	s_movk_i32 s3, 0xcccd
	s_delay_alu instid0(SALU_CYCLE_1) | instskip(NEXT) | instid1(VALU_DEP_1)
	v_mad_u16 v12, v1, s3, 0x3334
	v_lshlrev_b16 v13, 15, v12
	v_lshrrev_b16 v12, 1, v12
	s_delay_alu instid0(VALU_DEP_1) | instskip(NEXT) | instid1(VALU_DEP_1)
	v_or_b32_e32 v12, v12, v13
	v_cmp_gt_u16_e64 s3, 0x199a, v12
	s_or_not1_b32 s5, s3, exec_lo
; %bb.74:
	s_or_b32 exec_lo, exec_lo, s27
	s_and_saveexec_b32 s3, s2
; %bb.75:
	v_mad_u16 v12, 0xcccd, v1, 1
	s_delay_alu instid0(VALU_DEP_1) | instskip(SKIP_1) | instid1(VALU_DEP_1)
	v_lshlrev_b16 v13, 15, v12
	v_lshrrev_b16 v12, 1, v12
	v_or_b32_e32 v12, v12, v13
	s_delay_alu instid0(VALU_DEP_1)
	v_cmp_gt_u16_e64 s2, 0x199a, v12
	s_or_not1_b32 s4, s2, exec_lo
; %bb.76:
	s_or_b32 exec_lo, exec_lo, s3
	s_mov_b32 s3, -1
	s_mov_b32 s2, -1
	s_and_saveexec_b32 s27, s1
	s_cbranch_execnz .LBB48_168
; %bb.77:
	s_or_b32 exec_lo, exec_lo, s27
	s_and_saveexec_b32 s1, s0
	s_cbranch_execnz .LBB48_169
.LBB48_78:
	s_or_b32 exec_lo, exec_lo, s1
	s_mov_b32 s0, -1
	s_and_saveexec_b32 s1, vcc_lo
.LBB48_79:
	s_movk_i32 s0, 0xcccd
	s_delay_alu instid0(SALU_CYCLE_1) | instskip(NEXT) | instid1(VALU_DEP_1)
	v_mad_u16 v12, v1, s0, 0x6668
	v_lshlrev_b16 v13, 15, v12
	v_lshrrev_b16 v12, 1, v12
	s_delay_alu instid0(VALU_DEP_1) | instskip(NEXT) | instid1(VALU_DEP_1)
	v_or_b32_e32 v12, v12, v13
	v_cmp_gt_u16_e32 vcc_lo, 0x199a, v12
	s_or_not1_b32 s0, vcc_lo, exec_lo
.LBB48_80:
	s_or_b32 exec_lo, exec_lo, s1
	v_cndmask_b32_e64 v21, 0, 1, s0
	v_cndmask_b32_e64 v12, 0, 1, s3
	;; [unrolled: 1-line block ×5, first 2 shown]
	v_lshlrev_b16 v21, 8, v21
	v_cndmask_b32_e64 v14, 0, 1, s4
	v_cndmask_b32_e64 v16, 0, 1, s7
	;; [unrolled: 1-line block ×3, first 2 shown]
	v_lshlrev_b16 v17, 8, v17
	v_lshlrev_b16 v15, 8, v15
	;; [unrolled: 1-line block ×3, first 2 shown]
	v_or_b32_e32 v12, v12, v21
	v_cndmask_b32_e64 v19, 0, 1, s23
	v_cndmask_b32_e64 v22, 0, 1, s22
	v_or_b32_e32 v15, v16, v15
	s_delay_alu instid0(VALU_DEP_4) | instskip(SKIP_2) | instid1(VALU_DEP_4)
	v_dual_lshlrev_b32 v12, 16, v12 :: v_dual_bitop2_b32 v13, v14, v13 bitop3:0x54
	v_or_b32_e32 v17, v18, v17
	v_cndmask_b32_e64 v14, 0, 1, s20
	v_lshlrev_b32_e32 v15, 16, v15
	s_delay_alu instid0(VALU_DEP_4)
	v_and_b32_e32 v13, 0xffff, v13
	v_cndmask_b32_e64 v20, 0, 1, s24
	v_and_b32_e32 v16, 0xffff, v17
	v_cndmask_b32_e64 v17, 0, 1, s18
	v_cndmask_b32_e64 v23, 0, 1, s21
	;; [unrolled: 1-line block ×4, first 2 shown]
	v_or_b32_e32 v16, v16, v15
	v_or_b32_e32 v15, v13, v12
	v_lshlrev_b16 v12, 8, v19
	v_lshlrev_b16 v13, 8, v22
	v_lshlrev_b16 v14, 8, v14
	v_lshlrev_b16 v19, 8, v17
	s_delay_alu instid0(VALU_DEP_4) | instskip(NEXT) | instid1(VALU_DEP_4)
	v_dual_mov_b32 v17, 1 :: v_dual_bitop2_b32 v12, v21, v12 bitop3:0x54
	v_or_b32_e32 v13, v20, v13
	s_delay_alu instid0(VALU_DEP_4) | instskip(NEXT) | instid1(VALU_DEP_4)
	v_or_b32_e32 v14, v23, v14
	v_or_b32_e32 v19, v18, v19
	s_mov_b32 s0, exec_lo
	v_and_b32_e32 v12, 0xffff, v12
	v_lshlrev_b32_e32 v13, 16, v13
	v_and_b32_e32 v18, 0xffff, v14
	v_lshlrev_b32_e32 v19, 16, v19
	s_wait_dscnt 0x0
	s_barrier_signal -1
	s_barrier_wait -1
	v_cmpx_ne_u32_e32 0xe9, v0
	s_cbranch_execz .LBB48_84
; %bb.81:
	ds_load_u16 v11, v11 offset:470
	s_mov_b32 s2, -1
	s_mov_b32 s1, exec_lo
	s_wait_dscnt 0x0
	v_cmpx_ne_u16_e64 v11, v6
; %bb.82:
	s_movk_i32 s2, 0xcccd
	s_delay_alu instid0(SALU_CYCLE_1) | instskip(NEXT) | instid1(VALU_DEP_1)
	v_mad_u16 v11, v1, s2, 0x3335
	v_lshlrev_b16 v14, 15, v11
	v_lshrrev_b16 v11, 1, v11
	s_delay_alu instid0(VALU_DEP_1) | instskip(NEXT) | instid1(VALU_DEP_1)
	v_or_b32_e32 v11, v11, v14
	v_cmp_gt_u16_e32 vcc_lo, 0x199a, v11
	s_or_not1_b32 s2, vcc_lo, exec_lo
; %bb.83:
	s_or_b32 exec_lo, exec_lo, s1
	v_cndmask_b32_e64 v17, 0, 1, s2
.LBB48_84:
	s_or_b32 exec_lo, exec_lo, s0
	v_cndmask_b32_e64 v14, 0, 1, s17
	v_or_b32_e32 v13, v12, v13
	v_or_b32_e32 v12, v18, v19
	s_cbranch_execnz .LBB48_167
.LBB48_85:
	v_lshlrev_b32_e32 v11, 1, v0
	s_cmp_eq_u32 s16, 1
	s_wait_loadcnt 0x0
	v_cmp_ne_u16_e32 vcc_lo, v6, v10
	s_cbranch_scc1 .LBB48_127
; %bb.86:
	s_add_co_i32 s0, s14, 0x83a
	s_mov_b32 s17, -1
	v_mov_b32_e32 v12, s0
	s_mov_b32 s16, -1
	ds_store_b16 v11, v6
	global_load_u16 v15, v12, s[8:9] scale_offset
	s_wait_xcnt 0x0
	s_and_saveexec_b32 s1, vcc_lo
; %bb.87:
	s_movk_i32 s0, 0xcccd
	s_delay_alu instid0(SALU_CYCLE_1) | instskip(NEXT) | instid1(VALU_DEP_1)
	v_mad_u16 v12, v1, s0, 0x6668
	v_lshlrev_b16 v13, 15, v12
	v_lshrrev_b16 v12, 1, v12
	s_delay_alu instid0(VALU_DEP_1) | instskip(NEXT) | instid1(VALU_DEP_1)
	v_or_b32_e32 v12, v12, v13
	v_cmp_gt_u16_e64 s0, 0x199a, v12
	s_or_not1_b32 s16, s0, exec_lo
; %bb.88:
	s_or_b32 exec_lo, exec_lo, s1
	v_cmp_ne_u16_e64 s0, v10, v5
	s_and_saveexec_b32 s2, s0
; %bb.89:
	s_movk_i32 s1, 0xcccd
	s_delay_alu instid0(SALU_CYCLE_1) | instskip(NEXT) | instid1(VALU_DEP_1)
	v_mad_u16 v12, v1, s1, 0x999b
	v_lshlrev_b16 v13, 15, v12
	v_lshrrev_b16 v12, 1, v12
	s_delay_alu instid0(VALU_DEP_1) | instskip(NEXT) | instid1(VALU_DEP_1)
	v_or_b32_e32 v12, v12, v13
	v_cmp_gt_u16_e64 s1, 0x199a, v12
	s_or_not1_b32 s17, s1, exec_lo
; %bb.90:
	s_or_b32 exec_lo, exec_lo, s2
	v_cmp_ne_u16_e64 s1, v5, v9
	s_mov_b32 s19, -1
	s_mov_b32 s18, -1
	s_and_saveexec_b32 s3, s1
; %bb.91:
	s_movk_i32 s2, 0xcccd
	s_delay_alu instid0(SALU_CYCLE_1) | instskip(NEXT) | instid1(VALU_DEP_1)
	v_mad_u16 v12, v1, s2, 0xccce
	v_lshlrev_b16 v13, 15, v12
	v_lshrrev_b16 v12, 1, v12
	s_delay_alu instid0(VALU_DEP_1) | instskip(NEXT) | instid1(VALU_DEP_1)
	v_or_b32_e32 v12, v12, v13
	v_cmp_gt_u16_e64 s2, 0x199a, v12
	s_or_not1_b32 s18, s2, exec_lo
; %bb.92:
	s_or_b32 exec_lo, exec_lo, s3
	v_cmp_ne_u16_e64 s2, v9, v4
	s_and_saveexec_b32 s4, s2
; %bb.93:
	v_mad_u16 v12, 0xcccd, v1, 1
	s_delay_alu instid0(VALU_DEP_1) | instskip(SKIP_1) | instid1(VALU_DEP_1)
	v_lshlrev_b16 v13, 15, v12
	v_lshrrev_b16 v12, 1, v12
	v_or_b32_e32 v12, v12, v13
	s_delay_alu instid0(VALU_DEP_1)
	v_cmp_gt_u16_e64 s3, 0x199a, v12
	s_or_not1_b32 s19, s3, exec_lo
; %bb.94:
	s_or_b32 exec_lo, exec_lo, s4
	v_cmp_ne_u16_e64 s3, v4, v8
	s_mov_b32 s21, -1
	s_mov_b32 s20, -1
	s_and_saveexec_b32 s5, s3
; %bb.95:
	s_movk_i32 s4, 0xcccd
	s_delay_alu instid0(SALU_CYCLE_1) | instskip(NEXT) | instid1(VALU_DEP_1)
	v_mad_u16 v12, v1, s4, 0x3334
	v_lshlrev_b16 v13, 15, v12
	v_lshrrev_b16 v12, 1, v12
	s_delay_alu instid0(VALU_DEP_1) | instskip(NEXT) | instid1(VALU_DEP_1)
	v_or_b32_e32 v12, v12, v13
	v_cmp_gt_u16_e64 s4, 0x199a, v12
	s_or_not1_b32 s20, s4, exec_lo
; %bb.96:
	s_or_b32 exec_lo, exec_lo, s5
	v_cmp_ne_u16_e64 s4, v8, v3
	s_and_saveexec_b32 s6, s4
; %bb.97:
	s_movk_i32 s5, 0xcccd
	s_delay_alu instid0(SALU_CYCLE_1) | instskip(NEXT) | instid1(VALU_DEP_1)
	v_mad_u16 v12, v1, s5, 0x6667
	v_lshlrev_b16 v13, 15, v12
	v_lshrrev_b16 v12, 1, v12
	s_delay_alu instid0(VALU_DEP_1) | instskip(NEXT) | instid1(VALU_DEP_1)
	v_or_b32_e32 v12, v12, v13
	v_cmp_gt_u16_e64 s5, 0x199a, v12
	s_or_not1_b32 s21, s5, exec_lo
; %bb.98:
	s_or_b32 exec_lo, exec_lo, s6
	v_cmp_ne_u16_e64 s5, v3, v7
	s_mov_b32 s7, -1
	s_mov_b32 s22, -1
	s_and_saveexec_b32 s23, s5
; %bb.99:
	s_movk_i32 s6, 0xcccd
	s_delay_alu instid0(SALU_CYCLE_1) | instskip(NEXT) | instid1(VALU_DEP_1)
	v_mad_u16 v12, v1, s6, 0x999a
	v_lshlrev_b16 v13, 15, v12
	v_lshrrev_b16 v12, 1, v12
	s_delay_alu instid0(VALU_DEP_1) | instskip(NEXT) | instid1(VALU_DEP_1)
	v_or_b32_e32 v12, v12, v13
	v_cmp_gt_u16_e64 s6, 0x199a, v12
	s_or_not1_b32 s22, s6, exec_lo
; %bb.100:
	s_or_b32 exec_lo, exec_lo, s23
	v_cmp_ne_u16_e64 s6, v7, v2
	s_and_saveexec_b32 s23, s6
; %bb.101:
	v_mad_u16 v12, 0xcccd, v1, 0xcccd
	s_delay_alu instid0(VALU_DEP_1) | instskip(SKIP_1) | instid1(VALU_DEP_1)
	v_lshlrev_b16 v13, 15, v12
	v_lshrrev_b16 v12, 1, v12
	v_or_b32_e32 v12, v12, v13
	s_delay_alu instid0(VALU_DEP_1)
	v_cmp_gt_u16_e64 s7, 0x199a, v12
	s_or_not1_b32 s7, s7, exec_lo
; %bb.102:
	s_or_b32 exec_lo, exec_lo, s23
	v_cndmask_b32_e64 v13, 0, 1, s21
	v_cndmask_b32_e64 v17, 0, 1, s19
	;; [unrolled: 1-line block ×7, first 2 shown]
	v_lshlrev_b16 v13, 8, v13
	v_lshlrev_b16 v17, 8, v17
	;; [unrolled: 1-line block ×4, first 2 shown]
	s_mov_b32 s17, exec_lo
	v_or_b32_e32 v12, v12, v13
	v_or_b32_e32 v13, v16, v17
	v_or_b32_e32 v16, v19, v18
	s_wait_loadcnt_dscnt 0x0
	s_barrier_signal -1
	s_barrier_wait -1
	v_and_b32_e32 v17, 0xffff, v13
	v_dual_lshlrev_b32 v16, 16, v16 :: v_dual_bitop2_b32 v14, 1, v14 bitop3:0x54
	v_lshlrev_b32_e32 v12, 16, v12
	s_delay_alu instid0(VALU_DEP_2) | instskip(NEXT) | instid1(VALU_DEP_1)
	v_and_b32_e32 v14, 0xffff, v14
	v_or_b32_e32 v13, v14, v12
	s_delay_alu instid0(VALU_DEP_4)
	v_or_b32_e32 v12, v17, v16
	v_cmpx_ne_u32_e32 0, v0
	s_cbranch_execz .LBB48_106
; %bb.103:
	v_add_nc_u32_e32 v14, -2, v11
	s_mov_b32 s18, -1
	s_mov_b32 s19, exec_lo
	ds_load_u16 v14, v14
	s_wait_dscnt 0x0
	v_cmpx_ne_u16_e64 v2, v14
; %bb.104:
	v_mul_lo_u16 v14, 0xcccd, v1
	s_delay_alu instid0(VALU_DEP_1) | instskip(SKIP_1) | instid1(VALU_DEP_1)
	v_lshlrev_b16 v16, 15, v14
	v_lshrrev_b16 v14, 1, v14
	v_or_b32_e32 v14, v14, v16
	s_delay_alu instid0(VALU_DEP_1)
	v_cmp_gt_u16_e64 s7, 0x199a, v14
	s_or_not1_b32 s18, s7, exec_lo
; %bb.105:
	s_or_b32 exec_lo, exec_lo, s19
	v_dual_lshrrev_b32 v14, 24, v13 :: v_dual_lshrrev_b32 v16, 8, v13
	v_cndmask_b32_e64 v17, 0, 1, s18
	s_delay_alu instid0(VALU_DEP_2) | instskip(NEXT) | instid1(VALU_DEP_3)
	v_lshlrev_b16 v14, 8, v14
	v_lshlrev_b16 v16, 8, v16
	v_lshrrev_b32_e32 v13, 16, v13
	s_delay_alu instid0(VALU_DEP_1) | instskip(NEXT) | instid1(VALU_DEP_1)
	v_bitop3_b16 v13, v13, v14, 0xff bitop3:0xec
	v_dual_lshlrev_b32 v13, 16, v13 :: v_dual_bitop2_b32 v14, v17, v16 bitop3:0x54
	s_delay_alu instid0(VALU_DEP_1) | instskip(NEXT) | instid1(VALU_DEP_1)
	v_and_b32_e32 v14, 0xffff, v14
	v_or_b32_e32 v13, v14, v13
.LBB48_106:
	s_or_b32 exec_lo, exec_lo, s17
	v_cndmask_b32_e64 v14, 0, 1, s16
	s_mov_b32 s7, -1
	s_mov_b32 s16, -1
	ds_store_b16 v11, v2 offset:468
	s_and_saveexec_b32 s17, s6
; %bb.107:
	v_mad_u16 v16, 0xcccd, v1, 0xcccd
	s_delay_alu instid0(VALU_DEP_1) | instskip(SKIP_1) | instid1(VALU_DEP_1)
	v_lshlrev_b16 v17, 15, v16
	v_lshrrev_b16 v16, 1, v16
	v_or_b32_e32 v16, v16, v17
	s_delay_alu instid0(VALU_DEP_1)
	v_cmp_gt_u16_e64 s6, 0x199a, v16
	s_or_not1_b32 s16, s6, exec_lo
; %bb.108:
	s_or_b32 exec_lo, exec_lo, s17
	s_and_saveexec_b32 s6, s5
; %bb.109:
	s_movk_i32 s5, 0xcccd
	s_delay_alu instid0(SALU_CYCLE_1) | instskip(NEXT) | instid1(VALU_DEP_1)
	v_mad_u16 v16, v1, s5, 0x999a
	v_lshlrev_b16 v17, 15, v16
	v_lshrrev_b16 v16, 1, v16
	s_delay_alu instid0(VALU_DEP_1) | instskip(NEXT) | instid1(VALU_DEP_1)
	v_or_b32_e32 v16, v16, v17
	v_cmp_gt_u16_e64 s5, 0x199a, v16
	s_or_not1_b32 s7, s5, exec_lo
; %bb.110:
	s_or_b32 exec_lo, exec_lo, s6
	s_mov_b32 s5, -1
	s_mov_b32 s6, -1
	s_and_saveexec_b32 s17, s4
; %bb.111:
	s_movk_i32 s4, 0xcccd
	s_delay_alu instid0(SALU_CYCLE_1) | instskip(NEXT) | instid1(VALU_DEP_1)
	v_mad_u16 v16, v1, s4, 0x6667
	v_lshlrev_b16 v17, 15, v16
	v_lshrrev_b16 v16, 1, v16
	s_delay_alu instid0(VALU_DEP_1) | instskip(NEXT) | instid1(VALU_DEP_1)
	v_or_b32_e32 v16, v16, v17
	v_cmp_gt_u16_e64 s4, 0x199a, v16
	s_or_not1_b32 s6, s4, exec_lo
; %bb.112:
	s_or_b32 exec_lo, exec_lo, s17
	s_and_saveexec_b32 s4, s3
; %bb.113:
	s_movk_i32 s3, 0xcccd
	s_delay_alu instid0(SALU_CYCLE_1) | instskip(NEXT) | instid1(VALU_DEP_1)
	v_mad_u16 v16, v1, s3, 0x3334
	v_lshlrev_b16 v17, 15, v16
	v_lshrrev_b16 v16, 1, v16
	s_delay_alu instid0(VALU_DEP_1) | instskip(NEXT) | instid1(VALU_DEP_1)
	v_or_b32_e32 v16, v16, v17
	v_cmp_gt_u16_e64 s3, 0x199a, v16
	s_or_not1_b32 s5, s3, exec_lo
; %bb.114:
	s_or_b32 exec_lo, exec_lo, s4
	s_mov_b32 s3, -1
	s_mov_b32 s4, -1
	s_and_saveexec_b32 s17, s2
; %bb.115:
	v_mad_u16 v16, 0xcccd, v1, 1
	s_delay_alu instid0(VALU_DEP_1) | instskip(SKIP_1) | instid1(VALU_DEP_1)
	v_lshlrev_b16 v17, 15, v16
	v_lshrrev_b16 v16, 1, v16
	v_or_b32_e32 v16, v16, v17
	s_delay_alu instid0(VALU_DEP_1)
	v_cmp_gt_u16_e64 s2, 0x199a, v16
	s_or_not1_b32 s4, s2, exec_lo
; %bb.116:
	s_or_b32 exec_lo, exec_lo, s17
	s_and_saveexec_b32 s2, s1
; %bb.117:
	s_movk_i32 s1, 0xcccd
	s_delay_alu instid0(SALU_CYCLE_1) | instskip(NEXT) | instid1(VALU_DEP_1)
	v_mad_u16 v16, v1, s1, 0xccce
	v_lshlrev_b16 v17, 15, v16
	v_lshrrev_b16 v16, 1, v16
	s_delay_alu instid0(VALU_DEP_1) | instskip(NEXT) | instid1(VALU_DEP_1)
	v_or_b32_e32 v16, v16, v17
	v_cmp_gt_u16_e64 s1, 0x199a, v16
	s_or_not1_b32 s3, s1, exec_lo
; %bb.118:
	s_or_b32 exec_lo, exec_lo, s2
	s_mov_b32 s2, -1
	s_mov_b32 s1, -1
	s_and_saveexec_b32 s17, s0
; %bb.119:
	s_movk_i32 s0, 0xcccd
	s_delay_alu instid0(SALU_CYCLE_1) | instskip(NEXT) | instid1(VALU_DEP_1)
	v_mad_u16 v16, v1, s0, 0x999b
	v_lshlrev_b16 v17, 15, v16
	v_lshrrev_b16 v16, 1, v16
	s_delay_alu instid0(VALU_DEP_1) | instskip(NEXT) | instid1(VALU_DEP_1)
	v_or_b32_e32 v16, v16, v17
	v_cmp_gt_u16_e64 s0, 0x199a, v16
	s_or_not1_b32 s1, s0, exec_lo
; %bb.120:
	s_or_b32 exec_lo, exec_lo, s17
	s_and_saveexec_b32 s0, vcc_lo
; %bb.121:
	s_movk_i32 s2, 0xcccd
	s_delay_alu instid0(SALU_CYCLE_1) | instskip(NEXT) | instid1(VALU_DEP_1)
	v_mad_u16 v16, v1, s2, 0x6668
	v_lshlrev_b16 v17, 15, v16
	v_lshrrev_b16 v16, 1, v16
	s_delay_alu instid0(VALU_DEP_1) | instskip(NEXT) | instid1(VALU_DEP_1)
	v_or_b32_e32 v16, v16, v17
	v_cmp_gt_u16_e32 vcc_lo, 0x199a, v16
	s_or_not1_b32 s2, vcc_lo, exec_lo
; %bb.122:
	s_or_b32 exec_lo, exec_lo, s0
	s_delay_alu instid0(SALU_CYCLE_1)
	s_mov_b32 s0, exec_lo
	s_wait_dscnt 0x0
	s_barrier_signal -1
	s_barrier_wait -1
	v_cmpx_ne_u32_e32 0xe9, v0
; %bb.123:
	ds_load_u16 v15, v11 offset:470
; %bb.124:
	s_or_b32 exec_lo, exec_lo, s0
	s_mov_b32 s0, -1
	s_mov_b32 s17, exec_lo
	s_wait_dscnt 0x0
	v_cmpx_ne_u16_e64 v15, v6
; %bb.125:
	s_movk_i32 s0, 0xcccd
	s_delay_alu instid0(SALU_CYCLE_1) | instskip(NEXT) | instid1(VALU_DEP_1)
	v_mad_u16 v15, v1, s0, 0x3335
	v_lshlrev_b16 v16, 15, v15
	v_lshrrev_b16 v15, 1, v15
	s_delay_alu instid0(VALU_DEP_1) | instskip(NEXT) | instid1(VALU_DEP_1)
	v_or_b32_e32 v15, v15, v16
	v_cmp_gt_u16_e32 vcc_lo, 0x199a, v15
	s_or_not1_b32 s0, vcc_lo, exec_lo
; %bb.126:
	s_or_b32 exec_lo, exec_lo, s17
	v_cndmask_b32_e64 v16, 0, 1, s7
	v_cndmask_b32_e64 v18, 0, 1, s5
	;; [unrolled: 1-line block ×8, first 2 shown]
	v_lshlrev_b16 v16, 8, v16
	v_lshlrev_b16 v18, 8, v18
	;; [unrolled: 1-line block ×4, first 2 shown]
	s_delay_alu instid0(VALU_DEP_4) | instskip(NEXT) | instid1(VALU_DEP_4)
	v_or_b32_e32 v15, v15, v16
	v_or_b32_e32 v16, v17, v18
	s_delay_alu instid0(VALU_DEP_4) | instskip(NEXT) | instid1(VALU_DEP_4)
	v_or_b32_e32 v17, v19, v20
	v_or_b32_e32 v18, v22, v21
	s_delay_alu instid0(VALU_DEP_2) | instskip(NEXT) | instid1(VALU_DEP_2)
	v_and_b32_e32 v19, 0xffff, v17
	v_dual_lshlrev_b32 v18, 16, v18 :: v_dual_lshlrev_b32 v16, 16, v16
	v_and_b32_e32 v15, 0xffff, v15
	v_cndmask_b32_e64 v17, 0, 1, s0
	s_delay_alu instid0(VALU_DEP_2) | instskip(NEXT) | instid1(VALU_DEP_4)
	v_or_b32_e32 v16, v15, v16
	v_or_b32_e32 v15, v19, v18
	s_branch .LBB48_167
.LBB48_127:
                                        ; implicit-def: $vgpr14
                                        ; implicit-def: $vgpr12
                                        ; implicit-def: $vgpr13
                                        ; implicit-def: $vgpr17
                                        ; implicit-def: $vgpr15
                                        ; implicit-def: $vgpr16
	s_cbranch_execz .LBB48_167
; %bb.128:
	s_add_co_i32 s0, s14, -1
	s_add_co_i32 s1, s14, 0x83a
	s_delay_alu instid0(SALU_CYCLE_1)
	v_dual_mov_b32 v14, s0 :: v_dual_mov_b32 v15, s1
	v_cmp_ne_u16_e32 vcc_lo, v6, v10
	s_clause 0x1
	global_load_u16 v13, v14, s[8:9] scale_offset
	global_load_u16 v12, v15, s[8:9] scale_offset
	s_wait_xcnt 0x0
	s_mov_b32 s9, -1
	s_mov_b32 s8, -1
	ds_store_b16 v11, v6
	s_and_saveexec_b32 s1, vcc_lo
; %bb.129:
	s_movk_i32 s0, 0xcccd
	s_delay_alu instid0(SALU_CYCLE_1) | instskip(NEXT) | instid1(VALU_DEP_1)
	v_mad_u16 v14, v1, s0, 0x6668
	v_lshlrev_b16 v15, 15, v14
	v_lshrrev_b16 v14, 1, v14
	s_delay_alu instid0(VALU_DEP_1) | instskip(NEXT) | instid1(VALU_DEP_1)
	v_or_b32_e32 v14, v14, v15
	v_cmp_gt_u16_e64 s0, 0x199a, v14
	s_or_not1_b32 s8, s0, exec_lo
; %bb.130:
	s_or_b32 exec_lo, exec_lo, s1
	v_cmp_ne_u16_e64 s0, v10, v5
	s_and_saveexec_b32 s2, s0
; %bb.131:
	s_movk_i32 s1, 0xcccd
	s_delay_alu instid0(SALU_CYCLE_1) | instskip(NEXT) | instid1(VALU_DEP_1)
	v_mad_u16 v10, v1, s1, 0x999b
	v_lshlrev_b16 v14, 15, v10
	v_lshrrev_b16 v10, 1, v10
	s_delay_alu instid0(VALU_DEP_1) | instskip(NEXT) | instid1(VALU_DEP_1)
	v_or_b32_e32 v10, v10, v14
	v_cmp_gt_u16_e64 s1, 0x199a, v10
	s_or_not1_b32 s9, s1, exec_lo
; %bb.132:
	s_or_b32 exec_lo, exec_lo, s2
	v_cmp_ne_u16_e64 s1, v5, v9
	s_mov_b32 s17, -1
	s_mov_b32 s16, -1
	s_and_saveexec_b32 s3, s1
; %bb.133:
	s_movk_i32 s2, 0xcccd
	s_delay_alu instid0(SALU_CYCLE_1) | instskip(NEXT) | instid1(VALU_DEP_1)
	v_mad_u16 v5, v1, s2, 0xccce
	v_lshlrev_b16 v10, 15, v5
	v_lshrrev_b16 v5, 1, v5
	s_delay_alu instid0(VALU_DEP_1) | instskip(NEXT) | instid1(VALU_DEP_1)
	v_or_b32_e32 v5, v5, v10
	v_cmp_gt_u16_e64 s2, 0x199a, v5
	s_or_not1_b32 s16, s2, exec_lo
; %bb.134:
	s_or_b32 exec_lo, exec_lo, s3
	v_cmp_ne_u16_e64 s2, v9, v4
	v_mad_u16 v5, 0xcccd, v1, 1
	s_and_saveexec_b32 s4, s2
; %bb.135:
	s_delay_alu instid0(VALU_DEP_1) | instskip(SKIP_1) | instid1(VALU_DEP_1)
	v_lshlrev_b16 v9, 15, v5
	v_lshrrev_b16 v10, 1, v5
	v_or_b32_e32 v9, v10, v9
	s_delay_alu instid0(VALU_DEP_1)
	v_cmp_gt_u16_e64 s3, 0x199a, v9
	s_or_not1_b32 s17, s3, exec_lo
; %bb.136:
	s_or_b32 exec_lo, exec_lo, s4
	v_cmp_ne_u16_e64 s3, v4, v8
	s_mov_b32 s19, -1
	s_mov_b32 s18, -1
	s_and_saveexec_b32 s5, s3
; %bb.137:
	s_movk_i32 s4, 0xcccd
	s_delay_alu instid0(SALU_CYCLE_1) | instskip(NEXT) | instid1(VALU_DEP_1)
	v_mad_u16 v4, v1, s4, 0x3334
	v_lshlrev_b16 v9, 15, v4
	v_lshrrev_b16 v4, 1, v4
	s_delay_alu instid0(VALU_DEP_1) | instskip(NEXT) | instid1(VALU_DEP_1)
	v_or_b32_e32 v4, v4, v9
	v_cmp_gt_u16_e64 s4, 0x199a, v4
	s_or_not1_b32 s18, s4, exec_lo
; %bb.138:
	s_or_b32 exec_lo, exec_lo, s5
	v_cmp_ne_u16_e64 s4, v8, v3
	s_and_saveexec_b32 s6, s4
; %bb.139:
	s_movk_i32 s5, 0xcccd
	s_delay_alu instid0(SALU_CYCLE_1) | instskip(NEXT) | instid1(VALU_DEP_1)
	v_mad_u16 v4, v1, s5, 0x6667
	v_lshlrev_b16 v8, 15, v4
	v_lshrrev_b16 v4, 1, v4
	s_delay_alu instid0(VALU_DEP_1) | instskip(NEXT) | instid1(VALU_DEP_1)
	v_or_b32_e32 v4, v4, v8
	v_cmp_gt_u16_e64 s5, 0x199a, v4
	s_or_not1_b32 s19, s5, exec_lo
; %bb.140:
	s_or_b32 exec_lo, exec_lo, s6
	v_cmp_ne_u16_e64 s5, v3, v7
	s_mov_b32 s20, -1
	s_mov_b32 s21, -1
	s_and_saveexec_b32 s7, s5
; %bb.141:
	s_movk_i32 s6, 0xcccd
	s_delay_alu instid0(SALU_CYCLE_1) | instskip(NEXT) | instid1(VALU_DEP_1)
	v_mad_u16 v3, v1, s6, 0x999a
	v_lshlrev_b16 v4, 15, v3
	v_lshrrev_b16 v3, 1, v3
	s_delay_alu instid0(VALU_DEP_1) | instskip(NEXT) | instid1(VALU_DEP_1)
	v_or_b32_e32 v3, v3, v4
	v_cmp_gt_u16_e64 s6, 0x199a, v3
	s_or_not1_b32 s21, s6, exec_lo
; %bb.142:
	s_or_b32 exec_lo, exec_lo, s7
	v_cmp_ne_u16_e64 s6, v7, v2
	v_mad_u16 v3, 0xcccd, v1, 0xcccd
	s_and_saveexec_b32 s22, s6
; %bb.143:
	s_delay_alu instid0(VALU_DEP_1) | instskip(SKIP_1) | instid1(VALU_DEP_1)
	v_lshlrev_b16 v4, 15, v3
	v_lshrrev_b16 v7, 1, v3
	v_or_b32_e32 v4, v7, v4
	s_delay_alu instid0(VALU_DEP_1)
	v_cmp_gt_u16_e64 s7, 0x199a, v4
	s_or_not1_b32 s20, s7, exec_lo
; %bb.144:
	s_or_b32 exec_lo, exec_lo, s22
	s_delay_alu instid0(SALU_CYCLE_1)
	s_mov_b32 s22, exec_lo
	s_wait_loadcnt_dscnt 0x0
	s_barrier_signal -1
	s_barrier_wait -1
	v_cmpx_ne_u32_e32 0, v0
; %bb.145:
	v_add_nc_u32_e32 v4, -2, v11
	ds_load_u16 v13, v4
; %bb.146:
	s_or_b32 exec_lo, exec_lo, s22
	s_mov_b32 s23, -1
	s_mov_b32 s22, -1
	s_mov_b32 s24, exec_lo
	s_wait_dscnt 0x0
	v_cmpx_ne_u16_e64 v2, v13
; %bb.147:
	v_mul_lo_u16 v4, 0xcccd, v1
	s_delay_alu instid0(VALU_DEP_1) | instskip(SKIP_1) | instid1(VALU_DEP_1)
	v_lshlrev_b16 v7, 15, v4
	v_lshrrev_b16 v4, 1, v4
	v_or_b32_e32 v4, v4, v7
	s_delay_alu instid0(VALU_DEP_1)
	v_cmp_gt_u16_e64 s7, 0x199a, v4
	s_or_not1_b32 s22, s7, exec_lo
; %bb.148:
	s_or_b32 exec_lo, exec_lo, s24
	ds_store_b16 v11, v2 offset:468
	s_and_saveexec_b32 s7, s6
; %bb.149:
	v_lshlrev_b16 v2, 15, v3
	v_lshrrev_b16 v3, 1, v3
	s_delay_alu instid0(VALU_DEP_1) | instskip(NEXT) | instid1(VALU_DEP_1)
	v_or_b32_e32 v2, v3, v2
	v_cmp_gt_u16_e64 s6, 0x199a, v2
	s_or_not1_b32 s23, s6, exec_lo
; %bb.150:
	s_or_b32 exec_lo, exec_lo, s7
	s_mov_b32 s6, -1
	s_mov_b32 s7, -1
	s_and_saveexec_b32 s24, s5
; %bb.151:
	s_movk_i32 s5, 0xcccd
	s_delay_alu instid0(SALU_CYCLE_1) | instskip(NEXT) | instid1(VALU_DEP_1)
	v_mad_u16 v2, v1, s5, 0x999a
	v_lshlrev_b16 v3, 15, v2
	v_lshrrev_b16 v2, 1, v2
	s_delay_alu instid0(VALU_DEP_1) | instskip(NEXT) | instid1(VALU_DEP_1)
	v_or_b32_e32 v2, v2, v3
	v_cmp_gt_u16_e64 s5, 0x199a, v2
	s_or_not1_b32 s7, s5, exec_lo
; %bb.152:
	s_or_b32 exec_lo, exec_lo, s24
	s_and_saveexec_b32 s5, s4
; %bb.153:
	s_movk_i32 s4, 0xcccd
	s_delay_alu instid0(SALU_CYCLE_1) | instskip(NEXT) | instid1(VALU_DEP_1)
	v_mad_u16 v2, v1, s4, 0x6667
	v_lshlrev_b16 v3, 15, v2
	v_lshrrev_b16 v2, 1, v2
	s_delay_alu instid0(VALU_DEP_1) | instskip(NEXT) | instid1(VALU_DEP_1)
	v_or_b32_e32 v2, v2, v3
	v_cmp_gt_u16_e64 s4, 0x199a, v2
	s_or_not1_b32 s6, s4, exec_lo
; %bb.154:
	s_or_b32 exec_lo, exec_lo, s5
	s_mov_b32 s4, -1
	s_mov_b32 s5, -1
	s_and_saveexec_b32 s24, s3
; %bb.155:
	s_movk_i32 s3, 0xcccd
	s_delay_alu instid0(SALU_CYCLE_1) | instskip(NEXT) | instid1(VALU_DEP_1)
	v_mad_u16 v2, v1, s3, 0x3334
	v_lshlrev_b16 v3, 15, v2
	v_lshrrev_b16 v2, 1, v2
	s_delay_alu instid0(VALU_DEP_1) | instskip(NEXT) | instid1(VALU_DEP_1)
	v_or_b32_e32 v2, v2, v3
	v_cmp_gt_u16_e64 s3, 0x199a, v2
	s_or_not1_b32 s5, s3, exec_lo
; %bb.156:
	s_or_b32 exec_lo, exec_lo, s24
	s_and_saveexec_b32 s3, s2
; %bb.157:
	v_lshlrev_b16 v2, 15, v5
	v_lshrrev_b16 v3, 1, v5
	s_delay_alu instid0(VALU_DEP_1) | instskip(NEXT) | instid1(VALU_DEP_1)
	v_or_b32_e32 v2, v3, v2
	v_cmp_gt_u16_e64 s2, 0x199a, v2
	s_or_not1_b32 s4, s2, exec_lo
; %bb.158:
	s_or_b32 exec_lo, exec_lo, s3
	s_mov_b32 s2, -1
	s_mov_b32 s3, -1
	s_and_saveexec_b32 s24, s1
	s_cbranch_execnz .LBB48_170
; %bb.159:
	s_or_b32 exec_lo, exec_lo, s24
	s_and_saveexec_b32 s1, s0
	s_cbranch_execnz .LBB48_171
.LBB48_160:
	s_or_b32 exec_lo, exec_lo, s1
	s_mov_b32 s1, -1
	s_and_saveexec_b32 s0, vcc_lo
.LBB48_161:
	s_movk_i32 s1, 0xcccd
	s_delay_alu instid0(SALU_CYCLE_1) | instskip(NEXT) | instid1(VALU_DEP_1)
	v_mad_u16 v2, v1, s1, 0x6668
	v_lshlrev_b16 v3, 15, v2
	v_lshrrev_b16 v2, 1, v2
	s_delay_alu instid0(VALU_DEP_1) | instskip(NEXT) | instid1(VALU_DEP_1)
	v_or_b32_e32 v2, v2, v3
	v_cmp_gt_u16_e32 vcc_lo, 0x199a, v2
	s_or_not1_b32 s1, vcc_lo, exec_lo
.LBB48_162:
	s_or_b32 exec_lo, exec_lo, s0
	s_delay_alu instid0(SALU_CYCLE_1)
	s_mov_b32 s0, exec_lo
	s_wait_dscnt 0x0
	s_barrier_signal -1
	s_barrier_wait -1
	v_cmpx_ne_u32_e32 0xe9, v0
; %bb.163:
	ds_load_u16 v12, v11 offset:470
; %bb.164:
	s_or_b32 exec_lo, exec_lo, s0
	s_mov_b32 s0, -1
	s_mov_b32 s24, exec_lo
	s_wait_dscnt 0x0
	v_cmpx_ne_u16_e64 v12, v6
; %bb.165:
	s_movk_i32 s0, 0xcccd
	s_delay_alu instid0(SALU_CYCLE_1) | instskip(NEXT) | instid1(VALU_DEP_1)
	v_mad_u16 v0, v1, s0, 0x3335
	v_lshlrev_b16 v2, 15, v0
	v_lshrrev_b16 v0, 1, v0
	s_delay_alu instid0(VALU_DEP_1) | instskip(NEXT) | instid1(VALU_DEP_1)
	v_or_b32_e32 v0, v0, v2
	v_cmp_gt_u16_e32 vcc_lo, 0x199a, v0
	s_or_not1_b32 s0, vcc_lo, exec_lo
; %bb.166:
	s_or_b32 exec_lo, exec_lo, s24
	v_cndmask_b32_e64 v2, 0, 1, s7
	v_cndmask_b32_e64 v4, 0, 1, s5
	;; [unrolled: 1-line block ×10, first 2 shown]
	v_lshlrev_b16 v2, 8, v2
	v_lshlrev_b16 v4, 8, v4
	;; [unrolled: 1-line block ×3, first 2 shown]
	v_cndmask_b32_e64 v16, 0, 1, s9
	v_cndmask_b32_e64 v7, 0, 1, s2
	;; [unrolled: 1-line block ×5, first 2 shown]
	v_or_b32_e32 v0, v0, v2
	v_or_b32_e32 v2, v3, v4
	;; [unrolled: 1-line block ×3, first 2 shown]
	v_cndmask_b32_e64 v4, 0, 1, s22
	v_lshlrev_b16 v5, 8, v8
	v_lshlrev_b16 v6, 8, v9
	;; [unrolled: 1-line block ×5, first 2 shown]
	v_cndmask_b32_e64 v14, 0, 1, s8
	v_or_b32_e32 v4, v4, v6
	v_or_b32_e32 v6, v10, v8
	v_cndmask_b32_e64 v17, 0, 1, s0
	v_or_b32_e32 v8, v15, v11
	v_or_b32_e32 v5, v7, v5
	;; [unrolled: 1-line block ×3, first 2 shown]
	v_and_b32_e32 v4, 0xffff, v4
	v_lshlrev_b32_e32 v6, 16, v6
	v_and_b32_e32 v3, 0xffff, v3
	v_dual_lshlrev_b32 v8, 16, v8 :: v_dual_lshlrev_b32 v5, 16, v5
	v_lshlrev_b32_e32 v2, 16, v2
	v_and_b32_e32 v0, 0xffff, v0
	v_and_b32_e32 v7, 0xffff, v7
	v_or_b32_e32 v13, v4, v6
	v_or_b32_e32 v15, v3, v5
	s_delay_alu instid0(VALU_DEP_4) | instskip(NEXT) | instid1(VALU_DEP_4)
	v_or_b32_e32 v16, v0, v2
	v_or_b32_e32 v12, v7, v8
.LBB48_167:
	v_dual_mov_b32 v3, 0 :: v_dual_lshlrev_b32 v0, 3, v1
	s_delay_alu instid0(VALU_DEP_3) | instskip(SKIP_2) | instid1(VALU_DEP_3)
	v_and_b32_e32 v2, 0xff, v13
	v_bfe_u32 v4, v13, 8, 8
	s_lshl_b64 s[0:1], s[14:15], 3
	v_mov_b32_e32 v5, v3
	s_add_nc_u64 s[2:3], s[10:11], s[0:1]
	s_add_nc_u64 s[0:1], s[12:13], s[0:1]
	global_store_b128 v0, v[2:5], s[2:3]
	s_wait_xcnt 0x0
	v_lshrrev_b32_e32 v4, 24, v13
	v_bfe_u32 v2, v13, 16, 8
	global_store_b128 v0, v[2:5], s[2:3] offset:16
	s_wait_xcnt 0x0
	v_and_b32_e32 v2, 0xff, v12
	v_bfe_u32 v4, v12, 8, 8
	global_store_b128 v0, v[2:5], s[2:3] offset:32
	s_wait_xcnt 0x0
	v_lshrrev_b32_e32 v4, 24, v12
	v_bfe_u32 v2, v12, 16, 8
	global_store_b128 v0, v[2:5], s[2:3] offset:48
	s_wait_xcnt 0x0
	v_and_b32_e32 v2, 0xff, v14
	v_bfe_u32 v4, v16, 8, 8
	global_store_b64 v1, v[2:3], s[2:3] offset:64 scale_offset
	s_wait_xcnt 0x0
	v_and_b32_e32 v2, 0xff, v16
	global_store_b128 v0, v[2:5], s[0:1]
	s_wait_xcnt 0x0
	v_lshrrev_b32_e32 v4, 24, v16
	v_bfe_u32 v2, v16, 16, 8
	global_store_b128 v0, v[2:5], s[0:1] offset:16
	s_wait_xcnt 0x0
	v_and_b32_e32 v2, 0xff, v15
	v_bfe_u32 v4, v15, 8, 8
	global_store_b128 v0, v[2:5], s[0:1] offset:32
	s_wait_xcnt 0x0
	v_lshrrev_b32_e32 v4, 24, v15
	v_bfe_u32 v2, v15, 16, 8
	global_store_b128 v0, v[2:5], s[0:1] offset:48
	s_wait_xcnt 0x0
	v_and_b32_e32 v2, 0xff, v17
	global_store_b64 v1, v[2:3], s[0:1] offset:64 scale_offset
	s_endpgm
.LBB48_168:
	s_movk_i32 s1, 0xcccd
	s_delay_alu instid0(SALU_CYCLE_1) | instskip(NEXT) | instid1(VALU_DEP_1)
	v_mad_u16 v12, v1, s1, 0xccce
	v_lshlrev_b16 v13, 15, v12
	v_lshrrev_b16 v12, 1, v12
	s_delay_alu instid0(VALU_DEP_1) | instskip(NEXT) | instid1(VALU_DEP_1)
	v_or_b32_e32 v12, v12, v13
	v_cmp_gt_u16_e64 s1, 0x199a, v12
	s_or_not1_b32 s2, s1, exec_lo
	s_or_b32 exec_lo, exec_lo, s27
	s_and_saveexec_b32 s1, s0
	s_cbranch_execz .LBB48_78
.LBB48_169:
	s_movk_i32 s0, 0xcccd
	s_delay_alu instid0(SALU_CYCLE_1) | instskip(NEXT) | instid1(VALU_DEP_1)
	v_mad_u16 v12, v1, s0, 0x999b
	v_lshlrev_b16 v13, 15, v12
	v_lshrrev_b16 v12, 1, v12
	s_delay_alu instid0(VALU_DEP_1) | instskip(NEXT) | instid1(VALU_DEP_1)
	v_or_b32_e32 v12, v12, v13
	v_cmp_gt_u16_e64 s0, 0x199a, v12
	s_or_not1_b32 s3, s0, exec_lo
	s_or_b32 exec_lo, exec_lo, s1
	s_mov_b32 s0, -1
	s_and_saveexec_b32 s1, vcc_lo
	s_cbranch_execnz .LBB48_79
	s_branch .LBB48_80
.LBB48_170:
	s_movk_i32 s1, 0xcccd
	s_delay_alu instid0(SALU_CYCLE_1) | instskip(NEXT) | instid1(VALU_DEP_1)
	v_mad_u16 v2, v1, s1, 0xccce
	v_lshlrev_b16 v3, 15, v2
	v_lshrrev_b16 v2, 1, v2
	s_delay_alu instid0(VALU_DEP_1) | instskip(NEXT) | instid1(VALU_DEP_1)
	v_or_b32_e32 v2, v2, v3
	v_cmp_gt_u16_e64 s1, 0x199a, v2
	s_or_not1_b32 s3, s1, exec_lo
	s_or_b32 exec_lo, exec_lo, s24
	s_and_saveexec_b32 s1, s0
	s_cbranch_execz .LBB48_160
.LBB48_171:
	s_movk_i32 s0, 0xcccd
	s_delay_alu instid0(SALU_CYCLE_1) | instskip(NEXT) | instid1(VALU_DEP_1)
	v_mad_u16 v2, v1, s0, 0x999b
	v_lshlrev_b16 v3, 15, v2
	v_lshrrev_b16 v2, 1, v2
	s_delay_alu instid0(VALU_DEP_1) | instskip(NEXT) | instid1(VALU_DEP_1)
	v_or_b32_e32 v2, v2, v3
	v_cmp_gt_u16_e64 s0, 0x199a, v2
	s_or_not1_b32 s2, s0, exec_lo
	s_or_b32 exec_lo, exec_lo, s1
	s_mov_b32 s1, -1
	s_and_saveexec_b32 s0, vcc_lo
	s_cbranch_execnz .LBB48_161
	s_branch .LBB48_162
	.section	.rodata,"a",@progbits
	.p2align	6, 0x0
	.amdhsa_kernel _Z27flag_heads_and_tails_kernelIsb15custom_flag_op1IsELj234ELj9EEvPT_PxS4_
		.amdhsa_group_segment_fixed_size 936
		.amdhsa_private_segment_fixed_size 0
		.amdhsa_kernarg_size 24
		.amdhsa_user_sgpr_count 2
		.amdhsa_user_sgpr_dispatch_ptr 0
		.amdhsa_user_sgpr_queue_ptr 0
		.amdhsa_user_sgpr_kernarg_segment_ptr 1
		.amdhsa_user_sgpr_dispatch_id 0
		.amdhsa_user_sgpr_kernarg_preload_length 0
		.amdhsa_user_sgpr_kernarg_preload_offset 0
		.amdhsa_user_sgpr_private_segment_size 0
		.amdhsa_wavefront_size32 1
		.amdhsa_uses_dynamic_stack 0
		.amdhsa_enable_private_segment 0
		.amdhsa_system_sgpr_workgroup_id_x 1
		.amdhsa_system_sgpr_workgroup_id_y 0
		.amdhsa_system_sgpr_workgroup_id_z 0
		.amdhsa_system_sgpr_workgroup_info 0
		.amdhsa_system_vgpr_workitem_id 0
		.amdhsa_next_free_vgpr 24
		.amdhsa_next_free_sgpr 28
		.amdhsa_named_barrier_count 0
		.amdhsa_reserve_vcc 1
		.amdhsa_float_round_mode_32 0
		.amdhsa_float_round_mode_16_64 0
		.amdhsa_float_denorm_mode_32 3
		.amdhsa_float_denorm_mode_16_64 3
		.amdhsa_fp16_overflow 0
		.amdhsa_memory_ordered 1
		.amdhsa_forward_progress 1
		.amdhsa_inst_pref_size 63
		.amdhsa_round_robin_scheduling 0
		.amdhsa_exception_fp_ieee_invalid_op 0
		.amdhsa_exception_fp_denorm_src 0
		.amdhsa_exception_fp_ieee_div_zero 0
		.amdhsa_exception_fp_ieee_overflow 0
		.amdhsa_exception_fp_ieee_underflow 0
		.amdhsa_exception_fp_ieee_inexact 0
		.amdhsa_exception_int_div_zero 0
	.end_amdhsa_kernel
	.section	.text._Z27flag_heads_and_tails_kernelIsb15custom_flag_op1IsELj234ELj9EEvPT_PxS4_,"axG",@progbits,_Z27flag_heads_and_tails_kernelIsb15custom_flag_op1IsELj234ELj9EEvPT_PxS4_,comdat
.Lfunc_end48:
	.size	_Z27flag_heads_and_tails_kernelIsb15custom_flag_op1IsELj234ELj9EEvPT_PxS4_, .Lfunc_end48-_Z27flag_heads_and_tails_kernelIsb15custom_flag_op1IsELj234ELj9EEvPT_PxS4_
                                        ; -- End function
	.set _Z27flag_heads_and_tails_kernelIsb15custom_flag_op1IsELj234ELj9EEvPT_PxS4_.num_vgpr, 24
	.set _Z27flag_heads_and_tails_kernelIsb15custom_flag_op1IsELj234ELj9EEvPT_PxS4_.num_agpr, 0
	.set _Z27flag_heads_and_tails_kernelIsb15custom_flag_op1IsELj234ELj9EEvPT_PxS4_.numbered_sgpr, 28
	.set _Z27flag_heads_and_tails_kernelIsb15custom_flag_op1IsELj234ELj9EEvPT_PxS4_.num_named_barrier, 0
	.set _Z27flag_heads_and_tails_kernelIsb15custom_flag_op1IsELj234ELj9EEvPT_PxS4_.private_seg_size, 0
	.set _Z27flag_heads_and_tails_kernelIsb15custom_flag_op1IsELj234ELj9EEvPT_PxS4_.uses_vcc, 1
	.set _Z27flag_heads_and_tails_kernelIsb15custom_flag_op1IsELj234ELj9EEvPT_PxS4_.uses_flat_scratch, 0
	.set _Z27flag_heads_and_tails_kernelIsb15custom_flag_op1IsELj234ELj9EEvPT_PxS4_.has_dyn_sized_stack, 0
	.set _Z27flag_heads_and_tails_kernelIsb15custom_flag_op1IsELj234ELj9EEvPT_PxS4_.has_recursion, 0
	.set _Z27flag_heads_and_tails_kernelIsb15custom_flag_op1IsELj234ELj9EEvPT_PxS4_.has_indirect_call, 0
	.section	.AMDGPU.csdata,"",@progbits
; Kernel info:
; codeLenInByte = 7972
; TotalNumSgprs: 30
; NumVgprs: 24
; ScratchSize: 0
; MemoryBound: 0
; FloatMode: 240
; IeeeMode: 1
; LDSByteSize: 936 bytes/workgroup (compile time only)
; SGPRBlocks: 0
; VGPRBlocks: 1
; NumSGPRsForWavesPerEU: 30
; NumVGPRsForWavesPerEU: 24
; NamedBarCnt: 0
; Occupancy: 16
; WaveLimiterHint : 0
; COMPUTE_PGM_RSRC2:SCRATCH_EN: 0
; COMPUTE_PGM_RSRC2:USER_SGPR: 2
; COMPUTE_PGM_RSRC2:TRAP_HANDLER: 0
; COMPUTE_PGM_RSRC2:TGID_X_EN: 1
; COMPUTE_PGM_RSRC2:TGID_Y_EN: 0
; COMPUTE_PGM_RSRC2:TGID_Z_EN: 0
; COMPUTE_PGM_RSRC2:TIDIG_COMP_CNT: 0
	.section	.text._Z27flag_heads_and_tails_kernelItiN10test_utils7greaterELj100ELj3EEvPT_PxS4_,"axG",@progbits,_Z27flag_heads_and_tails_kernelItiN10test_utils7greaterELj100ELj3EEvPT_PxS4_,comdat
	.protected	_Z27flag_heads_and_tails_kernelItiN10test_utils7greaterELj100ELj3EEvPT_PxS4_ ; -- Begin function _Z27flag_heads_and_tails_kernelItiN10test_utils7greaterELj100ELj3EEvPT_PxS4_
	.globl	_Z27flag_heads_and_tails_kernelItiN10test_utils7greaterELj100ELj3EEvPT_PxS4_
	.p2align	8
	.type	_Z27flag_heads_and_tails_kernelItiN10test_utils7greaterELj100ELj3EEvPT_PxS4_,@function
_Z27flag_heads_and_tails_kernelItiN10test_utils7greaterELj100ELj3EEvPT_PxS4_: ; @_Z27flag_heads_and_tails_kernelItiN10test_utils7greaterELj100ELj3EEvPT_PxS4_
; %bb.0:
	s_load_b128 s[4:7], s[0:1], 0x0
	s_bfe_u32 s2, ttmp6, 0x4000c
	s_and_b32 s3, ttmp6, 15
	s_add_co_i32 s2, s2, 1
	s_getreg_b32 s8, hwreg(HW_REG_IB_STS2, 6, 4)
	s_mul_i32 s2, ttmp9, s2
	v_mul_u32_u24_e32 v1, 3, v0
	s_add_co_i32 s3, s3, s2
	s_cmp_eq_u32 s8, 0
	s_mov_b32 s11, 0
	s_cselect_b32 s12, ttmp9, s3
	v_lshlrev_b32_e32 v2, 1, v1
	s_mul_i32 s10, s12, 0x12c
	s_load_b64 s[8:9], s[0:1], 0x10
	s_lshl_b64 s[2:3], s[10:11], 1
	s_wait_kmcnt 0x0
	s_add_nc_u64 s[0:1], s[4:5], s[2:3]
	s_and_b32 s3, s12, 3
	s_clause 0x1
	global_load_b32 v5, v2, s[0:1]
	global_load_u16 v3, v1, s[0:1] offset:4 scale_offset
	s_cmp_lt_i32 s3, 2
	s_wait_loadcnt 0x1
	v_lshrrev_b32_e32 v6, 16, v5
	s_cbranch_scc1 .LBB49_8
; %bb.1:
	s_cmp_gt_i32 s3, 2
	s_cbranch_scc0 .LBB49_9
; %bb.2:
	v_dual_lshlrev_b32 v4, 1, v0 :: v_dual_mov_b32 v10, 1
	s_wait_xcnt 0x0
	v_cmp_gt_u16_e64 s0, v6, v5
	v_mov_b32_e32 v2, 1
	s_mov_b32 s2, exec_lo
	s_wait_loadcnt 0x0
	v_cmp_gt_u16_e32 vcc_lo, v3, v6
	ds_store_b16 v4, v3
	s_wait_dscnt 0x0
	s_barrier_signal -1
	s_barrier_wait -1
	v_cmpx_ne_u32_e32 0, v0
	s_cbranch_execz .LBB49_4
; %bb.3:
	v_add_nc_u32_e32 v2, -2, v4
	ds_load_u16 v2, v2
	s_wait_dscnt 0x0
	v_cmp_gt_u16_e64 s1, v5, v2
	s_delay_alu instid0(VALU_DEP_1)
	v_cndmask_b32_e64 v2, 0, 1, s1
.LBB49_4:
	s_or_b32 exec_lo, exec_lo, s2
	s_delay_alu instid0(SALU_CYCLE_1)
	s_mov_b32 s2, exec_lo
	ds_store_b16 v4, v5 offset:200
	s_wait_dscnt 0x0
	s_barrier_signal -1
	s_barrier_wait -1
	v_cmpx_ne_u32_e32 0x63, v0
	s_cbranch_execz .LBB49_6
; %bb.5:
	ds_load_u16 v4, v4 offset:202
	s_wait_dscnt 0x0
	v_cmp_gt_u16_e64 s1, v4, v3
	s_delay_alu instid0(VALU_DEP_1)
	v_cndmask_b32_e64 v10, 0, 1, s1
.LBB49_6:
	s_or_b32 exec_lo, exec_lo, s2
	v_cndmask_b32_e64 v8, 0, 1, vcc_lo
	v_cndmask_b32_e64 v4, 0, 1, s0
.LBB49_7:
	s_cbranch_execz .LBB49_15
	s_branch .LBB49_27
.LBB49_8:
	s_wait_xcnt 0x0
                                        ; implicit-def: $vgpr2
                                        ; implicit-def: $vgpr10
                                        ; implicit-def: $vgpr8
	s_branch .LBB49_15
.LBB49_9:
	s_wait_xcnt 0x0
                                        ; implicit-def: $vgpr2
                                        ; implicit-def: $vgpr10
                                        ; implicit-def: $vgpr8
	s_cbranch_execz .LBB49_7
; %bb.10:
	s_add_co_i32 s0, s10, -1
	s_delay_alu instid0(SALU_CYCLE_1)
	v_mov_b32_e32 v2, s0
	s_mov_b32 s0, exec_lo
	global_load_u16 v4, v2, s[4:5] scale_offset
	s_wait_xcnt 0x0
	v_lshlrev_b32_e32 v2, 1, v0
	s_wait_loadcnt 0x1
	ds_store_b16 v2, v3
	s_wait_loadcnt_dscnt 0x0
	s_barrier_signal -1
	s_barrier_wait -1
	v_cmpx_ne_u32_e32 0, v0
; %bb.11:
	v_add_nc_u32_e32 v4, -2, v2
	ds_load_u16 v4, v4
; %bb.12:
	s_or_b32 exec_lo, exec_lo, s0
	v_cmp_gt_u16_e64 s0, v6, v5
	s_wait_dscnt 0x0
	v_cmp_gt_u16_e64 s1, v5, v4
	v_mov_b32_e32 v10, 1
	s_mov_b32 s12, exec_lo
	v_cmp_gt_u16_e32 vcc_lo, v3, v6
	ds_store_b16 v2, v5 offset:200
	s_wait_dscnt 0x0
	s_barrier_signal -1
	s_barrier_wait -1
	v_cmpx_ne_u32_e32 0x63, v0
	s_cbranch_execz .LBB49_14
; %bb.13:
	ds_load_u16 v2, v2 offset:202
	s_wait_dscnt 0x0
	v_cmp_gt_u16_e64 s2, v2, v3
	s_delay_alu instid0(VALU_DEP_1)
	v_cndmask_b32_e64 v10, 0, 1, s2
.LBB49_14:
	s_or_b32 exec_lo, exec_lo, s12
	v_cndmask_b32_e64 v8, 0, 1, vcc_lo
	v_cndmask_b32_e64 v4, 0, 1, s0
	v_cndmask_b32_e64 v2, 0, 1, s1
	s_cbranch_execnz .LBB49_27
.LBB49_15:
	s_delay_alu instid0(VALU_DEP_1)
	v_cmp_gt_u16_e64 s0, v6, v5
	v_lshlrev_b32_e32 v7, 1, v0
	v_cmp_ne_u32_e64 s1, 0, v0
	s_cmp_eq_u32 s3, 1
	s_wait_loadcnt 0x0
	v_cmp_gt_u16_e32 vcc_lo, v3, v6
	s_cbranch_scc1 .LBB49_21
; %bb.16:
	s_add_co_i32 s2, s10, 0x12c
	ds_store_b16 v7, v3
	v_mov_b32_e32 v2, s2
	global_load_u16 v9, v2, s[4:5] scale_offset
	s_wait_xcnt 0x0
	v_mov_b32_e32 v2, 1
	s_wait_loadcnt_dscnt 0x0
	s_barrier_signal -1
	s_barrier_wait -1
	s_and_saveexec_b32 s2, s1
	s_cbranch_execz .LBB49_18
; %bb.17:
	v_add_nc_u32_e32 v2, -2, v7
	ds_load_u16 v2, v2
	s_wait_dscnt 0x0
	v_cmp_gt_u16_e64 s1, v5, v2
	s_delay_alu instid0(VALU_DEP_1)
	v_cndmask_b32_e64 v2, 0, 1, s1
.LBB49_18:
	s_or_b32 exec_lo, exec_lo, s2
	s_delay_alu instid0(SALU_CYCLE_1)
	s_mov_b32 s2, exec_lo
	ds_store_b16 v7, v5 offset:200
	s_wait_dscnt 0x0
	s_barrier_signal -1
	s_barrier_wait -1
	v_cmpx_ne_u32_e32 0x63, v0
; %bb.19:
	ds_load_u16 v9, v7 offset:202
; %bb.20:
	s_or_b32 exec_lo, exec_lo, s2
	v_cndmask_b32_e64 v8, 0, 1, vcc_lo
	s_wait_dscnt 0x0
	v_cmp_gt_u16_e32 vcc_lo, v9, v3
	v_cndmask_b32_e64 v4, 0, 1, s0
	v_cndmask_b32_e64 v10, 0, 1, vcc_lo
	s_branch .LBB49_27
.LBB49_21:
                                        ; implicit-def: $vgpr2
                                        ; implicit-def: $vgpr10
                                        ; implicit-def: $vgpr8
	s_cbranch_execz .LBB49_27
; %bb.22:
	s_add_co_i32 s0, s10, -1
	s_add_co_i32 s1, s10, 0x12c
	s_delay_alu instid0(SALU_CYCLE_1)
	v_dual_mov_b32 v4, s0 :: v_dual_mov_b32 v8, s1
	s_mov_b32 s0, exec_lo
	s_clause 0x1
	global_load_u16 v2, v4, s[4:5] scale_offset
	global_load_u16 v9, v8, s[4:5] scale_offset
	ds_store_b16 v7, v3
	s_wait_loadcnt_dscnt 0x0
	s_barrier_signal -1
	s_barrier_wait -1
	v_cmpx_ne_u32_e32 0, v0
; %bb.23:
	v_add_nc_u32_e32 v2, -2, v7
	ds_load_u16 v2, v2
; %bb.24:
	s_or_b32 exec_lo, exec_lo, s0
	s_delay_alu instid0(SALU_CYCLE_1)
	s_mov_b32 s0, exec_lo
	ds_store_b16 v7, v5 offset:200
	s_wait_dscnt 0x0
	s_barrier_signal -1
	s_barrier_wait -1
	v_cmpx_ne_u32_e32 0x63, v0
; %bb.25:
	ds_load_u16 v9, v7 offset:202
; %bb.26:
	s_or_b32 exec_lo, exec_lo, s0
	v_cmp_gt_u16_e32 vcc_lo, v3, v6
	v_cndmask_b32_e64 v8, 0, 1, vcc_lo
	v_cmp_gt_u16_e32 vcc_lo, v6, v5
	v_cndmask_b32_e64 v4, 0, 1, vcc_lo
	;; [unrolled: 2-line block ×3, first 2 shown]
	s_wait_dscnt 0x0
	v_cmp_gt_u16_e32 vcc_lo, v9, v3
	v_cndmask_b32_e64 v10, 0, 1, vcc_lo
.LBB49_27:
	s_delay_alu instid0(VALU_DEP_1) | instskip(SKIP_1) | instid1(VALU_DEP_2)
	v_dual_ashrrev_i32 v5, 31, v4 :: v_dual_lshlrev_b32 v0, 3, v1
	s_wait_loadcnt 0x0
	v_dual_ashrrev_i32 v3, 31, v2 :: v_dual_ashrrev_i32 v9, 31, v8
	s_lshl_b64 s[0:1], s[10:11], 3
	s_delay_alu instid0(VALU_DEP_2)
	v_dual_mov_b32 v6, v4 :: v_dual_mov_b32 v7, v5
	s_add_nc_u64 s[2:3], s[6:7], s[0:1]
	v_ashrrev_i32_e32 v11, 31, v10
	s_add_nc_u64 s[0:1], s[8:9], s[0:1]
	s_clause 0x1
	global_store_b128 v0, v[2:5], s[2:3]
	global_store_b64 v1, v[8:9], s[2:3] offset:16 scale_offset
	s_clause 0x1
	global_store_b128 v0, v[6:9], s[0:1]
	global_store_b64 v1, v[10:11], s[0:1] offset:16 scale_offset
	s_endpgm
	.section	.rodata,"a",@progbits
	.p2align	6, 0x0
	.amdhsa_kernel _Z27flag_heads_and_tails_kernelItiN10test_utils7greaterELj100ELj3EEvPT_PxS4_
		.amdhsa_group_segment_fixed_size 400
		.amdhsa_private_segment_fixed_size 0
		.amdhsa_kernarg_size 24
		.amdhsa_user_sgpr_count 2
		.amdhsa_user_sgpr_dispatch_ptr 0
		.amdhsa_user_sgpr_queue_ptr 0
		.amdhsa_user_sgpr_kernarg_segment_ptr 1
		.amdhsa_user_sgpr_dispatch_id 0
		.amdhsa_user_sgpr_kernarg_preload_length 0
		.amdhsa_user_sgpr_kernarg_preload_offset 0
		.amdhsa_user_sgpr_private_segment_size 0
		.amdhsa_wavefront_size32 1
		.amdhsa_uses_dynamic_stack 0
		.amdhsa_enable_private_segment 0
		.amdhsa_system_sgpr_workgroup_id_x 1
		.amdhsa_system_sgpr_workgroup_id_y 0
		.amdhsa_system_sgpr_workgroup_id_z 0
		.amdhsa_system_sgpr_workgroup_info 0
		.amdhsa_system_vgpr_workitem_id 0
		.amdhsa_next_free_vgpr 12
		.amdhsa_next_free_sgpr 13
		.amdhsa_named_barrier_count 0
		.amdhsa_reserve_vcc 1
		.amdhsa_float_round_mode_32 0
		.amdhsa_float_round_mode_16_64 0
		.amdhsa_float_denorm_mode_32 3
		.amdhsa_float_denorm_mode_16_64 3
		.amdhsa_fp16_overflow 0
		.amdhsa_memory_ordered 1
		.amdhsa_forward_progress 1
		.amdhsa_inst_pref_size 9
		.amdhsa_round_robin_scheduling 0
		.amdhsa_exception_fp_ieee_invalid_op 0
		.amdhsa_exception_fp_denorm_src 0
		.amdhsa_exception_fp_ieee_div_zero 0
		.amdhsa_exception_fp_ieee_overflow 0
		.amdhsa_exception_fp_ieee_underflow 0
		.amdhsa_exception_fp_ieee_inexact 0
		.amdhsa_exception_int_div_zero 0
	.end_amdhsa_kernel
	.section	.text._Z27flag_heads_and_tails_kernelItiN10test_utils7greaterELj100ELj3EEvPT_PxS4_,"axG",@progbits,_Z27flag_heads_and_tails_kernelItiN10test_utils7greaterELj100ELj3EEvPT_PxS4_,comdat
.Lfunc_end49:
	.size	_Z27flag_heads_and_tails_kernelItiN10test_utils7greaterELj100ELj3EEvPT_PxS4_, .Lfunc_end49-_Z27flag_heads_and_tails_kernelItiN10test_utils7greaterELj100ELj3EEvPT_PxS4_
                                        ; -- End function
	.set _Z27flag_heads_and_tails_kernelItiN10test_utils7greaterELj100ELj3EEvPT_PxS4_.num_vgpr, 12
	.set _Z27flag_heads_and_tails_kernelItiN10test_utils7greaterELj100ELj3EEvPT_PxS4_.num_agpr, 0
	.set _Z27flag_heads_and_tails_kernelItiN10test_utils7greaterELj100ELj3EEvPT_PxS4_.numbered_sgpr, 13
	.set _Z27flag_heads_and_tails_kernelItiN10test_utils7greaterELj100ELj3EEvPT_PxS4_.num_named_barrier, 0
	.set _Z27flag_heads_and_tails_kernelItiN10test_utils7greaterELj100ELj3EEvPT_PxS4_.private_seg_size, 0
	.set _Z27flag_heads_and_tails_kernelItiN10test_utils7greaterELj100ELj3EEvPT_PxS4_.uses_vcc, 1
	.set _Z27flag_heads_and_tails_kernelItiN10test_utils7greaterELj100ELj3EEvPT_PxS4_.uses_flat_scratch, 0
	.set _Z27flag_heads_and_tails_kernelItiN10test_utils7greaterELj100ELj3EEvPT_PxS4_.has_dyn_sized_stack, 0
	.set _Z27flag_heads_and_tails_kernelItiN10test_utils7greaterELj100ELj3EEvPT_PxS4_.has_recursion, 0
	.set _Z27flag_heads_and_tails_kernelItiN10test_utils7greaterELj100ELj3EEvPT_PxS4_.has_indirect_call, 0
	.section	.AMDGPU.csdata,"",@progbits
; Kernel info:
; codeLenInByte = 1120
; TotalNumSgprs: 15
; NumVgprs: 12
; ScratchSize: 0
; MemoryBound: 0
; FloatMode: 240
; IeeeMode: 1
; LDSByteSize: 400 bytes/workgroup (compile time only)
; SGPRBlocks: 0
; VGPRBlocks: 0
; NumSGPRsForWavesPerEU: 15
; NumVGPRsForWavesPerEU: 12
; NamedBarCnt: 0
; Occupancy: 16
; WaveLimiterHint : 0
; COMPUTE_PGM_RSRC2:SCRATCH_EN: 0
; COMPUTE_PGM_RSRC2:USER_SGPR: 2
; COMPUTE_PGM_RSRC2:TRAP_HANDLER: 0
; COMPUTE_PGM_RSRC2:TGID_X_EN: 1
; COMPUTE_PGM_RSRC2:TGID_Y_EN: 0
; COMPUTE_PGM_RSRC2:TGID_Z_EN: 0
; COMPUTE_PGM_RSRC2:TIDIG_COMP_CNT: 0
	.section	.text._Z27flag_heads_and_tails_kernelI12hip_bfloat16iN10test_utils7greaterELj37ELj3EEvPT_PxS5_,"axG",@progbits,_Z27flag_heads_and_tails_kernelI12hip_bfloat16iN10test_utils7greaterELj37ELj3EEvPT_PxS5_,comdat
	.protected	_Z27flag_heads_and_tails_kernelI12hip_bfloat16iN10test_utils7greaterELj37ELj3EEvPT_PxS5_ ; -- Begin function _Z27flag_heads_and_tails_kernelI12hip_bfloat16iN10test_utils7greaterELj37ELj3EEvPT_PxS5_
	.globl	_Z27flag_heads_and_tails_kernelI12hip_bfloat16iN10test_utils7greaterELj37ELj3EEvPT_PxS5_
	.p2align	8
	.type	_Z27flag_heads_and_tails_kernelI12hip_bfloat16iN10test_utils7greaterELj37ELj3EEvPT_PxS5_,@function
_Z27flag_heads_and_tails_kernelI12hip_bfloat16iN10test_utils7greaterELj37ELj3EEvPT_PxS5_: ; @_Z27flag_heads_and_tails_kernelI12hip_bfloat16iN10test_utils7greaterELj37ELj3EEvPT_PxS5_
; %bb.0:
	s_load_b128 s[4:7], s[0:1], 0x0
	s_bfe_u32 s2, ttmp6, 0x4000c
	s_and_b32 s3, ttmp6, 15
	s_add_co_i32 s2, s2, 1
	s_getreg_b32 s8, hwreg(HW_REG_IB_STS2, 6, 4)
	s_mul_i32 s2, ttmp9, s2
	v_mul_u32_u24_e32 v7, 3, v0
	s_add_co_i32 s3, s3, s2
	s_cmp_eq_u32 s8, 0
	s_mov_b32 s9, 0
	s_cselect_b32 s12, ttmp9, s3
	v_lshlrev_b32_e32 v1, 1, v7
	s_mul_i32 s8, s12, 0x6f
	s_load_b64 s[2:3], s[0:1], 0x10
	s_lshl_b64 s[10:11], s[8:9], 1
	s_wait_kmcnt 0x0
	s_add_nc_u64 s[0:1], s[4:5], s[10:11]
	s_and_b32 s10, s12, 3
	s_clause 0x1
	global_load_b32 v3, v1, s[0:1]
	global_load_u16 v5, v7, s[0:1] offset:4 scale_offset
	s_cmp_lt_i32 s10, 2
	s_cbranch_scc1 .LBB50_8
; %bb.1:
	s_cmp_gt_i32 s10, 2
	s_cbranch_scc0 .LBB50_9
; %bb.2:
	s_wait_loadcnt 0x1
	v_dual_lshlrev_b32 v9, 1, v0 :: v_dual_lshlrev_b32 v12, 16, v3
	v_and_b32_e32 v1, 0xffff0000, v3
	s_wait_loadcnt 0x0
	v_dual_mov_b32 v8, 1 :: v_dual_lshlrev_b32 v11, 16, v5
	s_mov_b32 s0, exec_lo
	ds_store_b16 v9, v5
	v_cmp_lt_f32_e32 vcc_lo, v12, v1
	s_wait_dscnt 0x0
	s_barrier_signal -1
	s_barrier_wait -1
	v_cndmask_b32_e64 v6, 0, 1, vcc_lo
	v_cmp_lt_f32_e32 vcc_lo, v1, v11
	s_delay_alu instid0(VALU_DEP_2) | instskip(SKIP_1) | instid1(VALU_DEP_1)
	v_dual_mov_b32 v2, 1 :: v_dual_mov_b32 v4, v6
	v_cndmask_b32_e64 v1, 0, 1, vcc_lo
	v_mov_b32_e32 v10, v1
	v_cmpx_ne_u32_e32 0, v0
	s_cbranch_execz .LBB50_4
; %bb.3:
	v_dual_add_nc_u32 v2, -2, v9 :: v_dual_mov_b32 v4, v6
	v_mov_b32_e32 v10, v1
	ds_load_u16 v2, v2
	s_wait_dscnt 0x0
	v_lshlrev_b32_e32 v2, 16, v2
	s_delay_alu instid0(VALU_DEP_1)
	v_cmp_gt_f32_e32 vcc_lo, v12, v2
	v_cndmask_b32_e64 v2, 0, 1, vcc_lo
.LBB50_4:
	s_or_b32 exec_lo, exec_lo, s0
	s_delay_alu instid0(SALU_CYCLE_1)
	s_mov_b32 s0, exec_lo
	ds_store_b16 v9, v3 offset:74
	s_wait_dscnt 0x0
	s_barrier_signal -1
	s_barrier_wait -1
	v_cmpx_ne_u32_e32 36, v0
	s_cbranch_execz .LBB50_6
; %bb.5:
	ds_load_u16 v8, v9 offset:76
	s_wait_dscnt 0x0
	v_lshlrev_b32_e32 v8, 16, v8
	s_delay_alu instid0(VALU_DEP_1)
	v_cmp_lt_f32_e32 vcc_lo, v11, v8
	v_cndmask_b32_e64 v8, 0, 1, vcc_lo
.LBB50_6:
	s_or_b32 exec_lo, exec_lo, s0
.LBB50_7:
	s_cbranch_execz .LBB50_15
	s_branch .LBB50_28
.LBB50_8:
	s_wait_xcnt 0x0
                                        ; implicit-def: $vgpr10
                                        ; implicit-def: $vgpr4
                                        ; implicit-def: $vgpr8
                                        ; implicit-def: $vgpr1
                                        ; implicit-def: $vgpr6
	s_branch .LBB50_15
.LBB50_9:
	s_wait_xcnt 0x0
                                        ; implicit-def: $vgpr10
                                        ; implicit-def: $vgpr4
                                        ; implicit-def: $vgpr8
                                        ; implicit-def: $vgpr1
                                        ; implicit-def: $vgpr6
	s_cbranch_execz .LBB50_7
; %bb.10:
	s_add_co_i32 s0, s8, -1
	s_delay_alu instid0(SALU_CYCLE_1)
	v_mov_b32_e32 v1, s0
	s_mov_b32 s0, exec_lo
	global_load_u16 v4, v1, s[4:5] scale_offset
	s_wait_xcnt 0x0
	v_lshlrev_b32_e32 v1, 1, v0
	s_wait_loadcnt 0x1
	ds_store_b16 v1, v5
	s_wait_loadcnt_dscnt 0x0
	s_barrier_signal -1
	s_barrier_wait -1
	v_cmpx_ne_u32_e32 0, v0
; %bb.11:
	v_add_nc_u32_e32 v2, -2, v1
	ds_load_u16 v4, v2
; %bb.12:
	s_or_b32 exec_lo, exec_lo, s0
	v_dual_lshlrev_b32 v2, 16, v5 :: v_dual_lshlrev_b32 v8, 16, v3
	v_and_b32_e32 v6, 0xffff0000, v3
	s_wait_dscnt 0x0
	v_lshlrev_b32_e32 v9, 16, v4
	s_mov_b32 s1, exec_lo
	ds_store_b16 v1, v3 offset:74
	s_wait_dscnt 0x0
	v_cmp_lt_f32_e32 vcc_lo, v6, v2
	s_barrier_signal -1
	s_barrier_wait -1
	v_cndmask_b32_e64 v10, 0, 1, vcc_lo
	v_cmp_lt_f32_e32 vcc_lo, v8, v6
	v_cndmask_b32_e64 v4, 0, 1, vcc_lo
	v_cmp_gt_f32_e32 vcc_lo, v8, v9
	v_mov_b32_e32 v8, 1
	v_cmpx_ne_u32_e32 36, v0
	s_cbranch_execz .LBB50_14
; %bb.13:
	ds_load_u16 v1, v1 offset:76
	s_wait_dscnt 0x0
	v_lshlrev_b32_e32 v1, 16, v1
	s_delay_alu instid0(VALU_DEP_1) | instskip(NEXT) | instid1(VALU_DEP_1)
	v_cmp_lt_f32_e64 s0, v2, v1
	v_cndmask_b32_e64 v8, 0, 1, s0
.LBB50_14:
	s_or_b32 exec_lo, exec_lo, s1
	v_cndmask_b32_e64 v2, 0, 1, vcc_lo
	v_dual_mov_b32 v1, v10 :: v_dual_mov_b32 v6, v4
	s_cbranch_execnz .LBB50_28
.LBB50_15:
	s_wait_loadcnt 0x0
	v_dual_lshlrev_b32 v4, 16, v5 :: v_dual_lshlrev_b32 v11, 1, v0
	v_and_b32_e32 v10, 0xffff0000, v3
	v_lshlrev_b32_e32 v9, 16, v3
	v_cmp_ne_u32_e64 s1, 0, v0
	s_cmp_eq_u32 s10, 1
	s_cbranch_scc1 .LBB50_21
; %bb.16:
	s_add_co_i32 s0, s8, 0x6f
	ds_store_b16 v11, v5
	v_dual_mov_b32 v1, s0 :: v_dual_mov_b32 v2, 1
	v_cmp_lt_f32_e64 s0, v9, v10
	v_cmp_lt_f32_e32 vcc_lo, v10, v4
	global_load_u16 v1, v1, s[4:5] scale_offset
	s_wait_loadcnt_dscnt 0x0
	s_barrier_signal -1
	s_barrier_wait -1
	s_and_saveexec_b32 s10, s1
	s_cbranch_execz .LBB50_18
; %bb.17:
	v_add_nc_u32_e32 v2, -2, v11
	ds_load_u16 v2, v2
	s_wait_dscnt 0x0
	v_lshlrev_b32_e32 v2, 16, v2
	s_delay_alu instid0(VALU_DEP_1) | instskip(NEXT) | instid1(VALU_DEP_1)
	v_cmp_gt_f32_e64 s1, v9, v2
	v_cndmask_b32_e64 v2, 0, 1, s1
.LBB50_18:
	s_or_b32 exec_lo, exec_lo, s10
	s_delay_alu instid0(SALU_CYCLE_1)
	s_mov_b32 s10, exec_lo
	ds_store_b16 v11, v3 offset:74
	s_wait_dscnt 0x0
	s_barrier_signal -1
	s_barrier_wait -1
	v_cmpx_ne_u32_e32 36, v0
; %bb.19:
	ds_load_u16 v1, v11 offset:76
; %bb.20:
	s_or_b32 exec_lo, exec_lo, s10
	s_wait_dscnt 0x0
	v_lshlrev_b32_e32 v8, 16, v1
	v_cndmask_b32_e64 v1, 0, 1, vcc_lo
	v_cndmask_b32_e64 v6, 0, 1, s0
	s_delay_alu instid0(VALU_DEP_3)
	v_cmp_lt_f32_e32 vcc_lo, v4, v8
	v_cndmask_b32_e64 v8, 0, 1, vcc_lo
	s_branch .LBB50_27
.LBB50_21:
                                        ; implicit-def: $vgpr2
                                        ; implicit-def: $vgpr8
                                        ; implicit-def: $vgpr1
                                        ; implicit-def: $vgpr6
	s_cbranch_execz .LBB50_27
; %bb.22:
	s_add_co_i32 s0, s8, -1
	s_add_co_i32 s1, s8, 0x6f
	s_delay_alu instid0(SALU_CYCLE_1)
	v_dual_mov_b32 v6, s0 :: v_dual_mov_b32 v8, s1
	s_mov_b32 s0, exec_lo
	s_clause 0x1
	global_load_u16 v2, v6, s[4:5] scale_offset
	global_load_u16 v1, v8, s[4:5] scale_offset
	ds_store_b16 v11, v5
	s_wait_loadcnt_dscnt 0x0
	s_barrier_signal -1
	s_barrier_wait -1
	v_cmpx_ne_u32_e32 0, v0
; %bb.23:
	v_add_nc_u32_e32 v2, -2, v11
	ds_load_u16 v2, v2
; %bb.24:
	s_or_b32 exec_lo, exec_lo, s0
	s_delay_alu instid0(SALU_CYCLE_1)
	s_mov_b32 s0, exec_lo
	ds_store_b16 v11, v3 offset:74
	s_wait_dscnt 0x0
	s_barrier_signal -1
	s_barrier_wait -1
	v_cmpx_ne_u32_e32 36, v0
; %bb.25:
	ds_load_u16 v1, v11 offset:76
; %bb.26:
	s_or_b32 exec_lo, exec_lo, s0
	v_cmp_lt_f32_e32 vcc_lo, v9, v10
	s_wait_dscnt 0x0
	v_dual_lshlrev_b32 v0, 16, v2 :: v_dual_lshlrev_b32 v3, 16, v1
	v_cndmask_b32_e64 v6, 0, 1, vcc_lo
	v_cmp_lt_f32_e32 vcc_lo, v10, v4
	v_cndmask_b32_e64 v1, 0, 1, vcc_lo
	s_delay_alu instid0(VALU_DEP_4)
	v_cmp_gt_f32_e32 vcc_lo, v9, v0
	v_cndmask_b32_e64 v2, 0, 1, vcc_lo
	v_cmp_lt_f32_e32 vcc_lo, v4, v3
	v_cndmask_b32_e64 v8, 0, 1, vcc_lo
.LBB50_27:
	s_delay_alu instid0(VALU_DEP_3)
	v_dual_mov_b32 v4, v6 :: v_dual_mov_b32 v10, v1
.LBB50_28:
	s_wait_loadcnt 0x1
	s_delay_alu instid0(VALU_DEP_2) | instskip(SKIP_1) | instid1(VALU_DEP_2)
	v_dual_lshlrev_b32 v0, 3, v7 :: v_dual_ashrrev_i32 v3, 31, v2
	s_wait_loadcnt 0x0
	v_dual_ashrrev_i32 v5, 31, v4 :: v_dual_ashrrev_i32 v11, 31, v10
	s_lshl_b64 s[0:1], s[8:9], 3
	v_dual_ashrrev_i32 v13, 31, v6 :: v_dual_ashrrev_i32 v15, 31, v1
	v_dual_mov_b32 v12, v6 :: v_dual_mov_b32 v14, v1
	s_add_nc_u64 s[4:5], s[6:7], s[0:1]
	v_ashrrev_i32_e32 v9, 31, v8
	s_add_nc_u64 s[0:1], s[2:3], s[0:1]
	s_clause 0x1
	global_store_b128 v0, v[2:5], s[4:5]
	global_store_b64 v7, v[10:11], s[4:5] offset:16 scale_offset
	s_clause 0x1
	global_store_b128 v0, v[12:15], s[0:1]
	global_store_b64 v7, v[8:9], s[0:1] offset:16 scale_offset
	s_endpgm
	.section	.rodata,"a",@progbits
	.p2align	6, 0x0
	.amdhsa_kernel _Z27flag_heads_and_tails_kernelI12hip_bfloat16iN10test_utils7greaterELj37ELj3EEvPT_PxS5_
		.amdhsa_group_segment_fixed_size 148
		.amdhsa_private_segment_fixed_size 0
		.amdhsa_kernarg_size 24
		.amdhsa_user_sgpr_count 2
		.amdhsa_user_sgpr_dispatch_ptr 0
		.amdhsa_user_sgpr_queue_ptr 0
		.amdhsa_user_sgpr_kernarg_segment_ptr 1
		.amdhsa_user_sgpr_dispatch_id 0
		.amdhsa_user_sgpr_kernarg_preload_length 0
		.amdhsa_user_sgpr_kernarg_preload_offset 0
		.amdhsa_user_sgpr_private_segment_size 0
		.amdhsa_wavefront_size32 1
		.amdhsa_uses_dynamic_stack 0
		.amdhsa_enable_private_segment 0
		.amdhsa_system_sgpr_workgroup_id_x 1
		.amdhsa_system_sgpr_workgroup_id_y 0
		.amdhsa_system_sgpr_workgroup_id_z 0
		.amdhsa_system_sgpr_workgroup_info 0
		.amdhsa_system_vgpr_workitem_id 0
		.amdhsa_next_free_vgpr 16
		.amdhsa_next_free_sgpr 13
		.amdhsa_named_barrier_count 0
		.amdhsa_reserve_vcc 1
		.amdhsa_float_round_mode_32 0
		.amdhsa_float_round_mode_16_64 0
		.amdhsa_float_denorm_mode_32 3
		.amdhsa_float_denorm_mode_16_64 3
		.amdhsa_fp16_overflow 0
		.amdhsa_memory_ordered 1
		.amdhsa_forward_progress 1
		.amdhsa_inst_pref_size 10
		.amdhsa_round_robin_scheduling 0
		.amdhsa_exception_fp_ieee_invalid_op 0
		.amdhsa_exception_fp_denorm_src 0
		.amdhsa_exception_fp_ieee_div_zero 0
		.amdhsa_exception_fp_ieee_overflow 0
		.amdhsa_exception_fp_ieee_underflow 0
		.amdhsa_exception_fp_ieee_inexact 0
		.amdhsa_exception_int_div_zero 0
	.end_amdhsa_kernel
	.section	.text._Z27flag_heads_and_tails_kernelI12hip_bfloat16iN10test_utils7greaterELj37ELj3EEvPT_PxS5_,"axG",@progbits,_Z27flag_heads_and_tails_kernelI12hip_bfloat16iN10test_utils7greaterELj37ELj3EEvPT_PxS5_,comdat
.Lfunc_end50:
	.size	_Z27flag_heads_and_tails_kernelI12hip_bfloat16iN10test_utils7greaterELj37ELj3EEvPT_PxS5_, .Lfunc_end50-_Z27flag_heads_and_tails_kernelI12hip_bfloat16iN10test_utils7greaterELj37ELj3EEvPT_PxS5_
                                        ; -- End function
	.set _Z27flag_heads_and_tails_kernelI12hip_bfloat16iN10test_utils7greaterELj37ELj3EEvPT_PxS5_.num_vgpr, 16
	.set _Z27flag_heads_and_tails_kernelI12hip_bfloat16iN10test_utils7greaterELj37ELj3EEvPT_PxS5_.num_agpr, 0
	.set _Z27flag_heads_and_tails_kernelI12hip_bfloat16iN10test_utils7greaterELj37ELj3EEvPT_PxS5_.numbered_sgpr, 13
	.set _Z27flag_heads_and_tails_kernelI12hip_bfloat16iN10test_utils7greaterELj37ELj3EEvPT_PxS5_.num_named_barrier, 0
	.set _Z27flag_heads_and_tails_kernelI12hip_bfloat16iN10test_utils7greaterELj37ELj3EEvPT_PxS5_.private_seg_size, 0
	.set _Z27flag_heads_and_tails_kernelI12hip_bfloat16iN10test_utils7greaterELj37ELj3EEvPT_PxS5_.uses_vcc, 1
	.set _Z27flag_heads_and_tails_kernelI12hip_bfloat16iN10test_utils7greaterELj37ELj3EEvPT_PxS5_.uses_flat_scratch, 0
	.set _Z27flag_heads_and_tails_kernelI12hip_bfloat16iN10test_utils7greaterELj37ELj3EEvPT_PxS5_.has_dyn_sized_stack, 0
	.set _Z27flag_heads_and_tails_kernelI12hip_bfloat16iN10test_utils7greaterELj37ELj3EEvPT_PxS5_.has_recursion, 0
	.set _Z27flag_heads_and_tails_kernelI12hip_bfloat16iN10test_utils7greaterELj37ELj3EEvPT_PxS5_.has_indirect_call, 0
	.section	.AMDGPU.csdata,"",@progbits
; Kernel info:
; codeLenInByte = 1236
; TotalNumSgprs: 15
; NumVgprs: 16
; ScratchSize: 0
; MemoryBound: 0
; FloatMode: 240
; IeeeMode: 1
; LDSByteSize: 148 bytes/workgroup (compile time only)
; SGPRBlocks: 0
; VGPRBlocks: 0
; NumSGPRsForWavesPerEU: 15
; NumVGPRsForWavesPerEU: 16
; NamedBarCnt: 0
; Occupancy: 16
; WaveLimiterHint : 0
; COMPUTE_PGM_RSRC2:SCRATCH_EN: 0
; COMPUTE_PGM_RSRC2:USER_SGPR: 2
; COMPUTE_PGM_RSRC2:TRAP_HANDLER: 0
; COMPUTE_PGM_RSRC2:TGID_X_EN: 1
; COMPUTE_PGM_RSRC2:TGID_Y_EN: 0
; COMPUTE_PGM_RSRC2:TGID_Z_EN: 0
; COMPUTE_PGM_RSRC2:TIDIG_COMP_CNT: 0
	.section	.text._Z27flag_heads_and_tails_kernelI6__halfiN10test_utils7greaterELj37ELj5EEvPT_PxS5_,"axG",@progbits,_Z27flag_heads_and_tails_kernelI6__halfiN10test_utils7greaterELj37ELj5EEvPT_PxS5_,comdat
	.protected	_Z27flag_heads_and_tails_kernelI6__halfiN10test_utils7greaterELj37ELj5EEvPT_PxS5_ ; -- Begin function _Z27flag_heads_and_tails_kernelI6__halfiN10test_utils7greaterELj37ELj5EEvPT_PxS5_
	.globl	_Z27flag_heads_and_tails_kernelI6__halfiN10test_utils7greaterELj37ELj5EEvPT_PxS5_
	.p2align	8
	.type	_Z27flag_heads_and_tails_kernelI6__halfiN10test_utils7greaterELj37ELj5EEvPT_PxS5_,@function
_Z27flag_heads_and_tails_kernelI6__halfiN10test_utils7greaterELj37ELj5EEvPT_PxS5_: ; @_Z27flag_heads_and_tails_kernelI6__halfiN10test_utils7greaterELj37ELj5EEvPT_PxS5_
; %bb.0:
	s_clause 0x1
	s_load_b128 s[8:11], s[0:1], 0x0
	s_load_b64 s[6:7], s[0:1], 0x10
	s_bfe_u32 s2, ttmp6, 0x4000c
	s_and_b32 s3, ttmp6, 15
	s_add_co_i32 s2, s2, 1
	s_getreg_b32 s4, hwreg(HW_REG_IB_STS2, 6, 4)
	s_mul_i32 s2, ttmp9, s2
	v_mul_u32_u24_e32 v1, 5, v0
	s_add_co_i32 s3, s3, s2
	s_cmp_eq_u32 s4, 0
	s_mov_b32 s13, 0
	s_cselect_b32 s4, ttmp9, s3
	v_lshlrev_b32_e32 v2, 1, v1
	s_mul_i32 s12, s4, 0xb9
	s_and_b32 s5, s4, 3
	s_lshl_b64 s[2:3], s[12:13], 1
	s_cmp_lt_i32 s5, 2
	s_wait_kmcnt 0x0
	s_add_nc_u64 s[0:1], s[8:9], s[2:3]
	s_clause 0x1
	global_load_b64 v[6:7], v2, s[0:1]
	global_load_u16 v3, v1, s[0:1] offset:8 scale_offset
	s_wait_loadcnt 0x1
	v_dual_lshrrev_b32 v5, 16, v6 :: v_dual_lshrrev_b32 v9, 16, v7
	s_cbranch_scc1 .LBB51_8
; %bb.1:
	s_cmp_gt_i32 s5, 2
	s_cbranch_scc0 .LBB51_9
; %bb.2:
	v_dual_lshlrev_b32 v4, 1, v0 :: v_dual_mov_b32 v14, 1
	s_wait_xcnt 0x0
	v_cmp_gt_f16_e64 s0, v9, v7
	v_cmp_gt_f16_e64 s1, v7, v5
	;; [unrolled: 1-line block ×3, first 2 shown]
	v_mov_b32_e32 v2, 1
	s_mov_b32 s4, exec_lo
	s_wait_loadcnt 0x0
	v_cmp_lt_f16_e32 vcc_lo, v9, v3
	ds_store_b16 v4, v3
	s_wait_dscnt 0x0
	s_barrier_signal -1
	s_barrier_wait -1
	v_cmpx_ne_u32_e32 0, v0
	s_cbranch_execz .LBB51_4
; %bb.3:
	v_add_nc_u32_e32 v2, -2, v4
	ds_load_u16 v2, v2
	s_wait_dscnt 0x0
	v_cmp_lt_f16_e64 s3, v2, v6
	s_delay_alu instid0(VALU_DEP_1)
	v_cndmask_b32_e64 v2, 0, 1, s3
.LBB51_4:
	s_or_b32 exec_lo, exec_lo, s4
	s_delay_alu instid0(SALU_CYCLE_1)
	s_mov_b32 s4, exec_lo
	ds_store_b16 v4, v6 offset:74
	s_wait_dscnt 0x0
	s_barrier_signal -1
	s_barrier_wait -1
	v_cmpx_ne_u32_e32 36, v0
	s_cbranch_execz .LBB51_6
; %bb.5:
	ds_load_u16 v4, v4 offset:76
	s_wait_dscnt 0x0
	v_cmp_gt_f16_e64 s3, v4, v3
	s_delay_alu instid0(VALU_DEP_1)
	v_cndmask_b32_e64 v14, 0, 1, s3
.LBB51_6:
	s_or_b32 exec_lo, exec_lo, s4
	v_cndmask_b32_e64 v8, 0, 1, vcc_lo
	v_cndmask_b32_e64 v12, 0, 1, s0
	v_cndmask_b32_e64 v10, 0, 1, s1
	v_cndmask_b32_e64 v4, 0, 1, s2
.LBB51_7:
	s_cbranch_execz .LBB51_15
	s_branch .LBB51_27
.LBB51_8:
	s_wait_xcnt 0x0
                                        ; implicit-def: $vgpr2
                                        ; implicit-def: $vgpr14
                                        ; implicit-def: $vgpr8
                                        ; implicit-def: $vgpr12
	s_branch .LBB51_15
.LBB51_9:
	s_wait_xcnt 0x0
                                        ; implicit-def: $vgpr2
                                        ; implicit-def: $vgpr14
                                        ; implicit-def: $vgpr8
                                        ; implicit-def: $vgpr12
	s_cbranch_execz .LBB51_7
; %bb.10:
	s_add_co_i32 s0, s12, -1
	s_delay_alu instid0(SALU_CYCLE_1)
	v_mov_b32_e32 v2, s0
	s_mov_b32 s0, exec_lo
	global_load_u16 v4, v2, s[8:9] scale_offset
	s_wait_xcnt 0x0
	v_lshlrev_b32_e32 v2, 1, v0
	s_wait_loadcnt 0x1
	ds_store_b16 v2, v3
	s_wait_loadcnt_dscnt 0x0
	s_barrier_signal -1
	s_barrier_wait -1
	v_cmpx_ne_u32_e32 0, v0
; %bb.11:
	v_add_nc_u32_e32 v4, -2, v2
	ds_load_u16 v4, v4
; %bb.12:
	s_or_b32 exec_lo, exec_lo, s0
	v_cmp_gt_f16_e64 s0, v9, v7
	v_cmp_gt_f16_e64 s1, v7, v5
	;; [unrolled: 1-line block ×3, first 2 shown]
	s_wait_dscnt 0x0
	v_cmp_lt_f16_e64 s3, v4, v6
	v_mov_b32_e32 v14, 1
	s_mov_b32 s14, exec_lo
	v_cmp_lt_f16_e32 vcc_lo, v9, v3
	ds_store_b16 v2, v6 offset:74
	s_wait_dscnt 0x0
	s_barrier_signal -1
	s_barrier_wait -1
	v_cmpx_ne_u32_e32 36, v0
	s_cbranch_execz .LBB51_14
; %bb.13:
	ds_load_u16 v2, v2 offset:76
	s_wait_dscnt 0x0
	v_cmp_gt_f16_e64 s4, v2, v3
	s_delay_alu instid0(VALU_DEP_1)
	v_cndmask_b32_e64 v14, 0, 1, s4
.LBB51_14:
	s_or_b32 exec_lo, exec_lo, s14
	v_cndmask_b32_e64 v8, 0, 1, vcc_lo
	v_cndmask_b32_e64 v12, 0, 1, s0
	v_cndmask_b32_e64 v10, 0, 1, s1
	;; [unrolled: 1-line block ×4, first 2 shown]
	s_cbranch_execnz .LBB51_27
.LBB51_15:
	s_delay_alu instid0(VALU_DEP_1)
	v_cmp_gt_f16_e64 s0, v9, v7
	v_cmp_gt_f16_e64 s1, v7, v5
	;; [unrolled: 1-line block ×3, first 2 shown]
	v_lshlrev_b32_e32 v11, 1, v0
	v_cmp_ne_u32_e64 s3, 0, v0
	s_cmp_eq_u32 s5, 1
	s_wait_loadcnt 0x0
	v_cmp_lt_f16_e32 vcc_lo, v9, v3
	s_cbranch_scc1 .LBB51_21
; %bb.16:
	s_add_co_i32 s4, s12, 0xb9
	ds_store_b16 v11, v3
	v_mov_b32_e32 v2, s4
	global_load_u16 v13, v2, s[8:9] scale_offset
	s_wait_xcnt 0x0
	v_mov_b32_e32 v2, 1
	s_wait_loadcnt_dscnt 0x0
	s_barrier_signal -1
	s_barrier_wait -1
	s_and_saveexec_b32 s4, s3
	s_cbranch_execz .LBB51_18
; %bb.17:
	v_add_nc_u32_e32 v2, -2, v11
	ds_load_u16 v2, v2
	s_wait_dscnt 0x0
	v_cmp_lt_f16_e64 s3, v2, v6
	s_delay_alu instid0(VALU_DEP_1)
	v_cndmask_b32_e64 v2, 0, 1, s3
.LBB51_18:
	s_or_b32 exec_lo, exec_lo, s4
	s_delay_alu instid0(SALU_CYCLE_1)
	s_mov_b32 s4, exec_lo
	ds_store_b16 v11, v6 offset:74
	s_wait_dscnt 0x0
	s_barrier_signal -1
	s_barrier_wait -1
	v_cmpx_ne_u32_e32 36, v0
; %bb.19:
	ds_load_u16 v13, v11 offset:76
; %bb.20:
	s_or_b32 exec_lo, exec_lo, s4
	v_cndmask_b32_e64 v8, 0, 1, vcc_lo
	s_wait_dscnt 0x0
	v_cmp_gt_f16_e32 vcc_lo, v13, v3
	v_cndmask_b32_e64 v12, 0, 1, s0
	v_cndmask_b32_e64 v10, 0, 1, s1
	;; [unrolled: 1-line block ×3, first 2 shown]
	v_cndmask_b32_e64 v14, 0, 1, vcc_lo
	s_branch .LBB51_27
.LBB51_21:
                                        ; implicit-def: $vgpr2
                                        ; implicit-def: $vgpr14
                                        ; implicit-def: $vgpr8
                                        ; implicit-def: $vgpr12
	s_cbranch_execz .LBB51_27
; %bb.22:
	s_add_co_i32 s0, s12, -1
	s_add_co_i32 s1, s12, 0xb9
	s_delay_alu instid0(SALU_CYCLE_1)
	v_dual_mov_b32 v4, s0 :: v_dual_mov_b32 v8, s1
	s_mov_b32 s0, exec_lo
	s_clause 0x1
	global_load_u16 v2, v4, s[8:9] scale_offset
	global_load_u16 v13, v8, s[8:9] scale_offset
	ds_store_b16 v11, v3
	s_wait_loadcnt_dscnt 0x0
	s_barrier_signal -1
	s_barrier_wait -1
	v_cmpx_ne_u32_e32 0, v0
; %bb.23:
	v_add_nc_u32_e32 v2, -2, v11
	ds_load_u16 v2, v2
; %bb.24:
	s_or_b32 exec_lo, exec_lo, s0
	s_delay_alu instid0(SALU_CYCLE_1)
	s_mov_b32 s0, exec_lo
	ds_store_b16 v11, v6 offset:74
	s_wait_dscnt 0x0
	s_barrier_signal -1
	s_barrier_wait -1
	v_cmpx_ne_u32_e32 36, v0
; %bb.25:
	ds_load_u16 v13, v11 offset:76
; %bb.26:
	s_or_b32 exec_lo, exec_lo, s0
	v_cmp_lt_f16_e32 vcc_lo, v9, v3
	v_cndmask_b32_e64 v8, 0, 1, vcc_lo
	v_cmp_gt_f16_e32 vcc_lo, v9, v7
	v_cndmask_b32_e64 v12, 0, 1, vcc_lo
	v_cmp_gt_f16_e32 vcc_lo, v7, v5
	;; [unrolled: 2-line block ×3, first 2 shown]
	v_cndmask_b32_e64 v4, 0, 1, vcc_lo
	v_cmp_lt_f16_e32 vcc_lo, v2, v6
	v_cndmask_b32_e64 v2, 0, 1, vcc_lo
	s_wait_dscnt 0x0
	v_cmp_gt_f16_e32 vcc_lo, v13, v3
	v_cndmask_b32_e64 v14, 0, 1, vcc_lo
.LBB51_27:
	s_wait_loadcnt 0x0
	s_delay_alu instid0(VALU_DEP_1)
	v_dual_ashrrev_i32 v13, 31, v12 :: v_dual_ashrrev_i32 v3, 31, v2
	v_dual_lshlrev_b32 v0, 3, v1 :: v_dual_ashrrev_i32 v11, 31, v10
	v_dual_mov_b32 v16, v4 :: v_dual_ashrrev_i32 v5, 31, v4
	s_lshl_b64 s[0:1], s[12:13], 3
	v_dual_mov_b32 v18, v10 :: v_dual_ashrrev_i32 v9, 31, v8
	v_dual_mov_b32 v6, v12 :: v_dual_mov_b32 v7, v13
	v_mov_b32_e32 v19, v11
	s_add_nc_u64 s[2:3], s[10:11], s[0:1]
	v_dual_mov_b32 v17, v5 :: v_dual_ashrrev_i32 v15, 31, v14
	global_store_b128 v0, v[10:13], s[2:3] offset:16
	s_add_nc_u64 s[0:1], s[6:7], s[0:1]
	s_clause 0x1
	global_store_b128 v0, v[2:5], s[2:3]
	global_store_b64 v1, v[8:9], s[2:3] offset:32 scale_offset
	s_clause 0x2
	global_store_b128 v0, v[6:9], s[0:1] offset:16
	global_store_b128 v0, v[16:19], s[0:1]
	global_store_b64 v1, v[14:15], s[0:1] offset:32 scale_offset
	s_endpgm
	.section	.rodata,"a",@progbits
	.p2align	6, 0x0
	.amdhsa_kernel _Z27flag_heads_and_tails_kernelI6__halfiN10test_utils7greaterELj37ELj5EEvPT_PxS5_
		.amdhsa_group_segment_fixed_size 148
		.amdhsa_private_segment_fixed_size 0
		.amdhsa_kernarg_size 24
		.amdhsa_user_sgpr_count 2
		.amdhsa_user_sgpr_dispatch_ptr 0
		.amdhsa_user_sgpr_queue_ptr 0
		.amdhsa_user_sgpr_kernarg_segment_ptr 1
		.amdhsa_user_sgpr_dispatch_id 0
		.amdhsa_user_sgpr_kernarg_preload_length 0
		.amdhsa_user_sgpr_kernarg_preload_offset 0
		.amdhsa_user_sgpr_private_segment_size 0
		.amdhsa_wavefront_size32 1
		.amdhsa_uses_dynamic_stack 0
		.amdhsa_enable_private_segment 0
		.amdhsa_system_sgpr_workgroup_id_x 1
		.amdhsa_system_sgpr_workgroup_id_y 0
		.amdhsa_system_sgpr_workgroup_id_z 0
		.amdhsa_system_sgpr_workgroup_info 0
		.amdhsa_system_vgpr_workitem_id 0
		.amdhsa_next_free_vgpr 20
		.amdhsa_next_free_sgpr 15
		.amdhsa_named_barrier_count 0
		.amdhsa_reserve_vcc 1
		.amdhsa_float_round_mode_32 0
		.amdhsa_float_round_mode_16_64 0
		.amdhsa_float_denorm_mode_32 3
		.amdhsa_float_denorm_mode_16_64 3
		.amdhsa_fp16_overflow 0
		.amdhsa_memory_ordered 1
		.amdhsa_forward_progress 1
		.amdhsa_inst_pref_size 11
		.amdhsa_round_robin_scheduling 0
		.amdhsa_exception_fp_ieee_invalid_op 0
		.amdhsa_exception_fp_denorm_src 0
		.amdhsa_exception_fp_ieee_div_zero 0
		.amdhsa_exception_fp_ieee_overflow 0
		.amdhsa_exception_fp_ieee_underflow 0
		.amdhsa_exception_fp_ieee_inexact 0
		.amdhsa_exception_int_div_zero 0
	.end_amdhsa_kernel
	.section	.text._Z27flag_heads_and_tails_kernelI6__halfiN10test_utils7greaterELj37ELj5EEvPT_PxS5_,"axG",@progbits,_Z27flag_heads_and_tails_kernelI6__halfiN10test_utils7greaterELj37ELj5EEvPT_PxS5_,comdat
.Lfunc_end51:
	.size	_Z27flag_heads_and_tails_kernelI6__halfiN10test_utils7greaterELj37ELj5EEvPT_PxS5_, .Lfunc_end51-_Z27flag_heads_and_tails_kernelI6__halfiN10test_utils7greaterELj37ELj5EEvPT_PxS5_
                                        ; -- End function
	.set _Z27flag_heads_and_tails_kernelI6__halfiN10test_utils7greaterELj37ELj5EEvPT_PxS5_.num_vgpr, 20
	.set _Z27flag_heads_and_tails_kernelI6__halfiN10test_utils7greaterELj37ELj5EEvPT_PxS5_.num_agpr, 0
	.set _Z27flag_heads_and_tails_kernelI6__halfiN10test_utils7greaterELj37ELj5EEvPT_PxS5_.numbered_sgpr, 15
	.set _Z27flag_heads_and_tails_kernelI6__halfiN10test_utils7greaterELj37ELj5EEvPT_PxS5_.num_named_barrier, 0
	.set _Z27flag_heads_and_tails_kernelI6__halfiN10test_utils7greaterELj37ELj5EEvPT_PxS5_.private_seg_size, 0
	.set _Z27flag_heads_and_tails_kernelI6__halfiN10test_utils7greaterELj37ELj5EEvPT_PxS5_.uses_vcc, 1
	.set _Z27flag_heads_and_tails_kernelI6__halfiN10test_utils7greaterELj37ELj5EEvPT_PxS5_.uses_flat_scratch, 0
	.set _Z27flag_heads_and_tails_kernelI6__halfiN10test_utils7greaterELj37ELj5EEvPT_PxS5_.has_dyn_sized_stack, 0
	.set _Z27flag_heads_and_tails_kernelI6__halfiN10test_utils7greaterELj37ELj5EEvPT_PxS5_.has_recursion, 0
	.set _Z27flag_heads_and_tails_kernelI6__halfiN10test_utils7greaterELj37ELj5EEvPT_PxS5_.has_indirect_call, 0
	.section	.AMDGPU.csdata,"",@progbits
; Kernel info:
; codeLenInByte = 1284
; TotalNumSgprs: 17
; NumVgprs: 20
; ScratchSize: 0
; MemoryBound: 0
; FloatMode: 240
; IeeeMode: 1
; LDSByteSize: 148 bytes/workgroup (compile time only)
; SGPRBlocks: 0
; VGPRBlocks: 1
; NumSGPRsForWavesPerEU: 17
; NumVGPRsForWavesPerEU: 20
; NamedBarCnt: 0
; Occupancy: 16
; WaveLimiterHint : 0
; COMPUTE_PGM_RSRC2:SCRATCH_EN: 0
; COMPUTE_PGM_RSRC2:USER_SGPR: 2
; COMPUTE_PGM_RSRC2:TRAP_HANDLER: 0
; COMPUTE_PGM_RSRC2:TGID_X_EN: 1
; COMPUTE_PGM_RSRC2:TGID_Y_EN: 0
; COMPUTE_PGM_RSRC2:TGID_Z_EN: 0
; COMPUTE_PGM_RSRC2:TIDIG_COMP_CNT: 0
	.section	.text._Z27flag_heads_and_tails_kernelIdjN6hipcub8EqualityELj464ELj2EEvPT_PxS4_,"axG",@progbits,_Z27flag_heads_and_tails_kernelIdjN6hipcub8EqualityELj464ELj2EEvPT_PxS4_,comdat
	.protected	_Z27flag_heads_and_tails_kernelIdjN6hipcub8EqualityELj464ELj2EEvPT_PxS4_ ; -- Begin function _Z27flag_heads_and_tails_kernelIdjN6hipcub8EqualityELj464ELj2EEvPT_PxS4_
	.globl	_Z27flag_heads_and_tails_kernelIdjN6hipcub8EqualityELj464ELj2EEvPT_PxS4_
	.p2align	8
	.type	_Z27flag_heads_and_tails_kernelIdjN6hipcub8EqualityELj464ELj2EEvPT_PxS4_,@function
_Z27flag_heads_and_tails_kernelIdjN6hipcub8EqualityELj464ELj2EEvPT_PxS4_: ; @_Z27flag_heads_and_tails_kernelIdjN6hipcub8EqualityELj464ELj2EEvPT_PxS4_
; %bb.0:
	s_load_b128 s[4:7], s[0:1], 0x0
	s_bfe_u32 s2, ttmp6, 0x4000c
	s_and_b32 s3, ttmp6, 15
	s_add_co_i32 s2, s2, 1
	s_getreg_b32 s8, hwreg(HW_REG_IB_STS2, 6, 4)
	s_mul_i32 s2, ttmp9, s2
	s_mov_b32 s11, 0
	s_add_co_i32 s3, s3, s2
	s_cmp_eq_u32 s8, 0
	s_load_b64 s[8:9], s[0:1], 0x10
	s_cselect_b32 s12, ttmp9, s3
	v_lshlrev_b32_e32 v9, 1, v0
	s_mul_i32 s10, s12, 0x3a0
	s_delay_alu instid0(SALU_CYCLE_1) | instskip(SKIP_1) | instid1(SALU_CYCLE_1)
	s_lshl_b64 s[2:3], s[10:11], 3
	s_and_b32 s11, s12, 3
	s_cmp_lt_i32 s11, 2
	s_wait_kmcnt 0x0
	s_add_nc_u64 s[0:1], s[4:5], s[2:3]
	global_load_b128 v[2:5], v0, s[0:1] scale_offset
	s_cbranch_scc1 .LBB52_8
; %bb.1:
	s_cmp_gt_i32 s11, 2
	s_cbranch_scc0 .LBB52_9
; %bb.2:
	v_dual_lshlrev_b32 v7, 3, v0 :: v_dual_mov_b32 v1, 1
	v_mov_b32_e32 v6, 1
	s_wait_xcnt 0x0
	s_mov_b32 s1, exec_lo
	s_wait_loadcnt 0x0
	v_cmp_eq_f64_e32 vcc_lo, v[4:5], v[2:3]
	ds_store_b64 v7, v[4:5]
	s_wait_dscnt 0x0
	s_barrier_signal -1
	s_barrier_wait -1
	v_cmpx_ne_u32_e32 0, v0
	s_cbranch_execz .LBB52_4
; %bb.3:
	v_add_nc_u32_e32 v6, -8, v7
	ds_load_b64 v[10:11], v6
	s_wait_dscnt 0x0
	v_cmp_eq_f64_e64 s0, v[2:3], v[10:11]
	s_delay_alu instid0(VALU_DEP_1)
	v_cndmask_b32_e64 v6, 0, 1, s0
.LBB52_4:
	s_or_b32 exec_lo, exec_lo, s1
	s_delay_alu instid0(SALU_CYCLE_1)
	s_mov_b32 s1, exec_lo
	ds_store_b64 v7, v[2:3] offset:3712
	s_wait_dscnt 0x0
	s_barrier_signal -1
	s_barrier_wait -1
	v_cmpx_ne_u32_e32 0x1cf, v0
	s_cbranch_execz .LBB52_6
; %bb.5:
	ds_load_b64 v[10:11], v7 offset:3720
	s_wait_dscnt 0x0
	v_cmp_eq_f64_e64 s0, v[10:11], v[4:5]
	s_delay_alu instid0(VALU_DEP_1)
	v_cndmask_b32_e64 v1, 0, 1, s0
.LBB52_6:
	s_or_b32 exec_lo, exec_lo, s1
	v_cndmask_b32_e64 v8, 0, 1, vcc_lo
.LBB52_7:
	s_cbranch_execz .LBB52_15
	s_branch .LBB52_27
.LBB52_8:
	s_wait_xcnt 0x0
                                        ; implicit-def: $vgpr6
                                        ; implicit-def: $vgpr1
	s_branch .LBB52_15
.LBB52_9:
	s_wait_xcnt 0x0
                                        ; implicit-def: $vgpr6
                                        ; implicit-def: $vgpr1
	s_cbranch_execz .LBB52_7
; %bb.10:
	s_add_co_i32 s0, s10, -1
	v_lshlrev_b32_e32 v8, 3, v0
	s_load_b64 s[0:1], s[4:5], s0 offset:0x0 scale_offset
	s_wait_loadcnt 0x0
	ds_store_b64 v8, v[4:5]
	s_wait_dscnt 0x0
	s_barrier_signal -1
	s_barrier_wait -1
	s_wait_kmcnt 0x0
	v_mov_b64_e32 v[6:7], s[0:1]
	s_mov_b32 s0, exec_lo
	v_cmpx_ne_u32_e32 0, v0
; %bb.11:
	v_add_nc_u32_e32 v1, -8, v8
	ds_load_b64 v[6:7], v1
; %bb.12:
	s_or_b32 exec_lo, exec_lo, s0
	s_wait_dscnt 0x0
	v_cmp_eq_f64_e64 s0, v[2:3], v[6:7]
	v_mov_b32_e32 v1, 1
	s_mov_b32 s12, exec_lo
	v_cmp_eq_f64_e32 vcc_lo, v[4:5], v[2:3]
	ds_store_b64 v8, v[2:3] offset:3712
	s_wait_dscnt 0x0
	s_barrier_signal -1
	s_barrier_wait -1
	v_cmpx_ne_u32_e32 0x1cf, v0
	s_cbranch_execz .LBB52_14
; %bb.13:
	ds_load_b64 v[6:7], v8 offset:3720
	s_wait_dscnt 0x0
	v_cmp_eq_f64_e64 s1, v[6:7], v[4:5]
	s_delay_alu instid0(VALU_DEP_1)
	v_cndmask_b32_e64 v1, 0, 1, s1
.LBB52_14:
	s_or_b32 exec_lo, exec_lo, s12
	v_cndmask_b32_e64 v8, 0, 1, vcc_lo
	v_cndmask_b32_e64 v6, 0, 1, s0
	s_cbranch_execnz .LBB52_27
.LBB52_15:
	v_lshlrev_b32_e32 v12, 3, v0
	v_cmp_ne_u32_e64 s0, 0, v0
	s_cmp_eq_u32 s11, 1
	s_wait_loadcnt 0x0
	v_cmp_eq_f64_e32 vcc_lo, v[4:5], v[2:3]
	s_cbranch_scc1 .LBB52_21
; %bb.16:
	s_add_co_i32 s1, s10, 0x3a0
	v_mov_b32_e32 v6, 1
	s_load_b64 s[12:13], s[4:5], s1 offset:0x0 scale_offset
	ds_store_b64 v12, v[4:5]
	s_wait_dscnt 0x0
	s_barrier_signal -1
	s_barrier_wait -1
	s_wait_xcnt 0x0
	s_and_saveexec_b32 s1, s0
	s_cbranch_execz .LBB52_18
; %bb.17:
	v_add_nc_u32_e32 v1, -8, v12
	ds_load_b64 v[6:7], v1
	s_wait_dscnt 0x0
	v_cmp_eq_f64_e64 s0, v[2:3], v[6:7]
	s_delay_alu instid0(VALU_DEP_1)
	v_cndmask_b32_e64 v6, 0, 1, s0
.LBB52_18:
	s_or_b32 exec_lo, exec_lo, s1
	s_wait_kmcnt 0x0
	v_mov_b64_e32 v[10:11], s[12:13]
	s_mov_b32 s1, exec_lo
	ds_store_b64 v12, v[2:3] offset:3712
	s_wait_dscnt 0x0
	s_barrier_signal -1
	s_barrier_wait -1
	v_cmpx_ne_u32_e32 0x1cf, v0
; %bb.19:
	ds_load_b64 v[10:11], v12 offset:3720
; %bb.20:
	s_or_b32 exec_lo, exec_lo, s1
	v_cndmask_b32_e64 v8, 0, 1, vcc_lo
	s_wait_dscnt 0x0
	v_cmp_eq_f64_e32 vcc_lo, v[10:11], v[4:5]
	v_cndmask_b32_e64 v1, 0, 1, vcc_lo
	s_branch .LBB52_27
.LBB52_21:
                                        ; implicit-def: $vgpr6
                                        ; implicit-def: $vgpr1
	s_cbranch_execz .LBB52_27
; %bb.22:
	s_add_co_i32 s0, s10, -1
	ds_store_b64 v12, v[4:5]
	s_load_b64 s[12:13], s[4:5], s0 offset:0x0 scale_offset
	s_wait_xcnt 0x0
	s_add_co_i32 s0, s10, 0x3a0
	s_load_b64 s[0:1], s[4:5], s0 offset:0x0 scale_offset
	s_wait_xcnt 0x0
	s_mov_b32 s4, exec_lo
	s_wait_dscnt 0x0
	s_barrier_signal -1
	s_barrier_wait -1
	s_wait_kmcnt 0x0
	v_mov_b64_e32 v[6:7], s[12:13]
	v_cmpx_ne_u32_e32 0, v0
; %bb.23:
	v_add_nc_u32_e32 v1, -8, v12
	ds_load_b64 v[6:7], v1
; %bb.24:
	s_or_b32 exec_lo, exec_lo, s4
	v_cmp_ne_u32_e32 vcc_lo, 0x1cf, v0
	v_mov_b64_e32 v[0:1], s[0:1]
	ds_store_b64 v12, v[2:3] offset:3712
	s_wait_dscnt 0x0
	s_barrier_signal -1
	s_barrier_wait -1
	s_and_saveexec_b32 s0, vcc_lo
; %bb.25:
	ds_load_b64 v[0:1], v12 offset:3720
; %bb.26:
	s_or_b32 exec_lo, exec_lo, s0
	v_cmp_eq_f64_e32 vcc_lo, v[4:5], v[2:3]
	v_cndmask_b32_e64 v8, 0, 1, vcc_lo
	v_cmp_eq_f64_e32 vcc_lo, v[2:3], v[6:7]
	v_cndmask_b32_e64 v6, 0, 1, vcc_lo
	s_wait_dscnt 0x0
	v_cmp_eq_f64_e32 vcc_lo, v[0:1], v[4:5]
	v_cndmask_b32_e64 v1, 0, 1, vcc_lo
.LBB52_27:
	v_dual_mov_b32 v7, 0 :: v_dual_lshlrev_b32 v0, 3, v9
	s_add_nc_u64 s[0:1], s[6:7], s[2:3]
	s_delay_alu instid0(VALU_DEP_1)
	v_mov_b32_e32 v9, v7
	global_store_b128 v0, v[6:9], s[0:1]
	s_wait_xcnt 0x0
	v_dual_mov_b32 v6, v8 :: v_dual_mov_b32 v8, v1
	s_add_nc_u64 s[0:1], s[8:9], s[2:3]
	global_store_b128 v0, v[6:9], s[0:1]
	s_endpgm
	.section	.rodata,"a",@progbits
	.p2align	6, 0x0
	.amdhsa_kernel _Z27flag_heads_and_tails_kernelIdjN6hipcub8EqualityELj464ELj2EEvPT_PxS4_
		.amdhsa_group_segment_fixed_size 7424
		.amdhsa_private_segment_fixed_size 0
		.amdhsa_kernarg_size 24
		.amdhsa_user_sgpr_count 2
		.amdhsa_user_sgpr_dispatch_ptr 0
		.amdhsa_user_sgpr_queue_ptr 0
		.amdhsa_user_sgpr_kernarg_segment_ptr 1
		.amdhsa_user_sgpr_dispatch_id 0
		.amdhsa_user_sgpr_kernarg_preload_length 0
		.amdhsa_user_sgpr_kernarg_preload_offset 0
		.amdhsa_user_sgpr_private_segment_size 0
		.amdhsa_wavefront_size32 1
		.amdhsa_uses_dynamic_stack 0
		.amdhsa_enable_private_segment 0
		.amdhsa_system_sgpr_workgroup_id_x 1
		.amdhsa_system_sgpr_workgroup_id_y 0
		.amdhsa_system_sgpr_workgroup_id_z 0
		.amdhsa_system_sgpr_workgroup_info 0
		.amdhsa_system_vgpr_workitem_id 0
		.amdhsa_next_free_vgpr 13
		.amdhsa_next_free_sgpr 14
		.amdhsa_named_barrier_count 0
		.amdhsa_reserve_vcc 1
		.amdhsa_float_round_mode_32 0
		.amdhsa_float_round_mode_16_64 0
		.amdhsa_float_denorm_mode_32 3
		.amdhsa_float_denorm_mode_16_64 3
		.amdhsa_fp16_overflow 0
		.amdhsa_memory_ordered 1
		.amdhsa_forward_progress 1
		.amdhsa_inst_pref_size 8
		.amdhsa_round_robin_scheduling 0
		.amdhsa_exception_fp_ieee_invalid_op 0
		.amdhsa_exception_fp_denorm_src 0
		.amdhsa_exception_fp_ieee_div_zero 0
		.amdhsa_exception_fp_ieee_overflow 0
		.amdhsa_exception_fp_ieee_underflow 0
		.amdhsa_exception_fp_ieee_inexact 0
		.amdhsa_exception_int_div_zero 0
	.end_amdhsa_kernel
	.section	.text._Z27flag_heads_and_tails_kernelIdjN6hipcub8EqualityELj464ELj2EEvPT_PxS4_,"axG",@progbits,_Z27flag_heads_and_tails_kernelIdjN6hipcub8EqualityELj464ELj2EEvPT_PxS4_,comdat
.Lfunc_end52:
	.size	_Z27flag_heads_and_tails_kernelIdjN6hipcub8EqualityELj464ELj2EEvPT_PxS4_, .Lfunc_end52-_Z27flag_heads_and_tails_kernelIdjN6hipcub8EqualityELj464ELj2EEvPT_PxS4_
                                        ; -- End function
	.set _Z27flag_heads_and_tails_kernelIdjN6hipcub8EqualityELj464ELj2EEvPT_PxS4_.num_vgpr, 13
	.set _Z27flag_heads_and_tails_kernelIdjN6hipcub8EqualityELj464ELj2EEvPT_PxS4_.num_agpr, 0
	.set _Z27flag_heads_and_tails_kernelIdjN6hipcub8EqualityELj464ELj2EEvPT_PxS4_.numbered_sgpr, 14
	.set _Z27flag_heads_and_tails_kernelIdjN6hipcub8EqualityELj464ELj2EEvPT_PxS4_.num_named_barrier, 0
	.set _Z27flag_heads_and_tails_kernelIdjN6hipcub8EqualityELj464ELj2EEvPT_PxS4_.private_seg_size, 0
	.set _Z27flag_heads_and_tails_kernelIdjN6hipcub8EqualityELj464ELj2EEvPT_PxS4_.uses_vcc, 1
	.set _Z27flag_heads_and_tails_kernelIdjN6hipcub8EqualityELj464ELj2EEvPT_PxS4_.uses_flat_scratch, 0
	.set _Z27flag_heads_and_tails_kernelIdjN6hipcub8EqualityELj464ELj2EEvPT_PxS4_.has_dyn_sized_stack, 0
	.set _Z27flag_heads_and_tails_kernelIdjN6hipcub8EqualityELj464ELj2EEvPT_PxS4_.has_recursion, 0
	.set _Z27flag_heads_and_tails_kernelIdjN6hipcub8EqualityELj464ELj2EEvPT_PxS4_.has_indirect_call, 0
	.section	.AMDGPU.csdata,"",@progbits
; Kernel info:
; codeLenInByte = 956
; TotalNumSgprs: 16
; NumVgprs: 13
; ScratchSize: 0
; MemoryBound: 0
; FloatMode: 240
; IeeeMode: 1
; LDSByteSize: 7424 bytes/workgroup (compile time only)
; SGPRBlocks: 0
; VGPRBlocks: 0
; NumSGPRsForWavesPerEU: 16
; NumVGPRsForWavesPerEU: 13
; NamedBarCnt: 0
; Occupancy: 15
; WaveLimiterHint : 0
; COMPUTE_PGM_RSRC2:SCRATCH_EN: 0
; COMPUTE_PGM_RSRC2:USER_SGPR: 2
; COMPUTE_PGM_RSRC2:TRAP_HANDLER: 0
; COMPUTE_PGM_RSRC2:TGID_X_EN: 1
; COMPUTE_PGM_RSRC2:TGID_Y_EN: 0
; COMPUTE_PGM_RSRC2:TGID_Z_EN: 0
; COMPUTE_PGM_RSRC2:TIDIG_COMP_CNT: 0
	.section	.text._Z27flag_heads_and_tails_kernelIdi15custom_flag_op2IdELj33ELj5EEvPT_PxS4_,"axG",@progbits,_Z27flag_heads_and_tails_kernelIdi15custom_flag_op2IdELj33ELj5EEvPT_PxS4_,comdat
	.protected	_Z27flag_heads_and_tails_kernelIdi15custom_flag_op2IdELj33ELj5EEvPT_PxS4_ ; -- Begin function _Z27flag_heads_and_tails_kernelIdi15custom_flag_op2IdELj33ELj5EEvPT_PxS4_
	.globl	_Z27flag_heads_and_tails_kernelIdi15custom_flag_op2IdELj33ELj5EEvPT_PxS4_
	.p2align	8
	.type	_Z27flag_heads_and_tails_kernelIdi15custom_flag_op2IdELj33ELj5EEvPT_PxS4_,@function
_Z27flag_heads_and_tails_kernelIdi15custom_flag_op2IdELj33ELj5EEvPT_PxS4_: ; @_Z27flag_heads_and_tails_kernelIdi15custom_flag_op2IdELj33ELj5EEvPT_PxS4_
; %bb.0:
	s_clause 0x1
	s_load_b128 s[8:11], s[0:1], 0x0
	s_load_b64 s[12:13], s[0:1], 0x10
	s_bfe_u32 s2, ttmp6, 0x4000c
	s_and_b32 s3, ttmp6, 15
	s_add_co_i32 s2, s2, 1
	s_getreg_b32 s4, hwreg(HW_REG_IB_STS2, 6, 4)
	s_mul_i32 s2, ttmp9, s2
	v_mul_u32_u24_e32 v26, 5, v0
	s_add_co_i32 s3, s3, s2
	s_cmp_eq_u32 s4, 0
	s_mov_b32 s15, 0
	s_cselect_b32 s2, ttmp9, s3
	v_lshlrev_b32_e32 v27, 3, v26
	s_mul_i32 s14, s2, 0xa5
	s_and_b32 s5, s2, 3
	s_lshl_b64 s[6:7], s[14:15], 3
	s_cmp_lt_i32 s5, 2
	s_wait_kmcnt 0x0
	s_add_nc_u64 s[0:1], s[8:9], s[6:7]
	s_clause 0x2
	global_load_b128 v[10:13], v27, s[0:1] offset:16
	global_load_b64 v[20:21], v26, s[0:1] offset:32 scale_offset
	global_load_b128 v[2:5], v27, s[0:1]
	s_cbranch_scc1 .LBB53_8
; %bb.1:
	s_cmp_gt_i32 s5, 2
	s_cbranch_scc0 .LBB53_9
; %bb.2:
	s_wait_loadcnt 0x1
	v_dual_add_f64 v[6:7], v[20:21], -v[12:13] :: v_dual_mov_b32 v22, 1
	v_dual_add_f64 v[8:9], v[12:13], -v[10:11] :: v_dual_lshlrev_b32 v1, 3, v0
	s_wait_loadcnt 0x0
	v_add_f64_e64 v[14:15], v[10:11], -v[4:5]
	v_add_f64_e64 v[16:17], v[4:5], -v[2:3]
	s_mov_b32 s4, exec_lo
	ds_store_b64 v1, v[20:21]
	s_wait_dscnt 0x0
	s_barrier_signal -1
	s_barrier_wait -1
	v_cmp_lt_f64_e32 vcc_lo, 0x40140000, v[6:7]
	v_mov_b32_e32 v6, 1
	v_cmp_lt_f64_e64 s0, 0x40140000, v[8:9]
	v_cmp_lt_f64_e64 s1, 0x40140000, v[14:15]
	;; [unrolled: 1-line block ×3, first 2 shown]
	v_cmpx_ne_u32_e32 0, v0
	s_cbranch_execz .LBB53_4
; %bb.3:
	v_add_nc_u32_e32 v6, -8, v1
	ds_load_b64 v[6:7], v6
	s_wait_dscnt 0x0
	v_add_f64_e64 v[6:7], v[2:3], -v[6:7]
	s_delay_alu instid0(VALU_DEP_1) | instskip(NEXT) | instid1(VALU_DEP_1)
	v_cmp_lt_f64_e64 s3, 0x40140000, v[6:7]
	v_cndmask_b32_e64 v6, 0, 1, s3
.LBB53_4:
	s_or_b32 exec_lo, exec_lo, s4
	s_delay_alu instid0(SALU_CYCLE_1)
	s_mov_b32 s4, exec_lo
	ds_store_b64 v1, v[2:3] offset:264
	s_wait_dscnt 0x0
	s_barrier_signal -1
	s_barrier_wait -1
	v_cmpx_ne_u32_e32 32, v0
	s_cbranch_execz .LBB53_6
; %bb.5:
	ds_load_b64 v[8:9], v1 offset:272
	s_wait_dscnt 0x0
	v_add_f64_e64 v[8:9], v[8:9], -v[20:21]
	s_delay_alu instid0(VALU_DEP_1) | instskip(NEXT) | instid1(VALU_DEP_1)
	v_cmp_lt_f64_e64 s3, 0x40140000, v[8:9]
	v_cndmask_b32_e64 v22, 0, 1, s3
.LBB53_6:
	s_or_b32 exec_lo, exec_lo, s4
	v_cndmask_b32_e64 v14, 0, 1, vcc_lo
	v_cndmask_b32_e64 v18, 0, 1, s0
	v_cndmask_b32_e64 v16, 0, 1, s1
	;; [unrolled: 1-line block ×3, first 2 shown]
.LBB53_7:
	s_cbranch_execz .LBB53_15
	s_branch .LBB53_27
.LBB53_8:
	s_wait_xcnt 0x0
                                        ; implicit-def: $vgpr6
                                        ; implicit-def: $vgpr22
                                        ; implicit-def: $vgpr14
                                        ; implicit-def: $vgpr18
	s_branch .LBB53_15
.LBB53_9:
	s_wait_xcnt 0x0
                                        ; implicit-def: $vgpr6
                                        ; implicit-def: $vgpr22
                                        ; implicit-def: $vgpr14
                                        ; implicit-def: $vgpr18
	s_cbranch_execz .LBB53_7
; %bb.10:
	s_add_co_i32 s0, s14, -1
	v_lshlrev_b32_e32 v1, 3, v0
	s_load_b64 s[0:1], s[8:9], s0 offset:0x0 scale_offset
	s_wait_loadcnt 0x1
	ds_store_b64 v1, v[20:21]
	s_wait_loadcnt_dscnt 0x0
	s_barrier_signal -1
	s_barrier_wait -1
	s_wait_kmcnt 0x0
	v_mov_b64_e32 v[6:7], s[0:1]
	s_mov_b32 s0, exec_lo
	v_cmpx_ne_u32_e32 0, v0
; %bb.11:
	v_add_nc_u32_e32 v6, -8, v1
	ds_load_b64 v[6:7], v6
; %bb.12:
	s_or_b32 exec_lo, exec_lo, s0
	v_add_f64_e64 v[14:15], v[12:13], -v[10:11]
	v_add_f64_e64 v[16:17], v[10:11], -v[4:5]
	;; [unrolled: 1-line block ×3, first 2 shown]
	s_wait_dscnt 0x0
	v_add_f64_e64 v[6:7], v[2:3], -v[6:7]
	v_dual_add_f64 v[8:9], v[20:21], -v[12:13] :: v_dual_mov_b32 v22, 1
	s_mov_b32 s15, exec_lo
	ds_store_b64 v1, v[2:3] offset:264
	s_wait_dscnt 0x0
	s_barrier_signal -1
	s_barrier_wait -1
	v_cmp_lt_f64_e64 s0, 0x40140000, v[14:15]
	v_cmp_lt_f64_e64 s1, 0x40140000, v[16:17]
	;; [unrolled: 1-line block ×4, first 2 shown]
	v_cmp_lt_f64_e32 vcc_lo, 0x40140000, v[8:9]
	v_cmpx_ne_u32_e32 32, v0
	s_cbranch_execz .LBB53_14
; %bb.13:
	ds_load_b64 v[6:7], v1 offset:272
	s_wait_dscnt 0x0
	v_add_f64_e64 v[6:7], v[6:7], -v[20:21]
	s_delay_alu instid0(VALU_DEP_1) | instskip(NEXT) | instid1(VALU_DEP_1)
	v_cmp_lt_f64_e64 s4, 0x40140000, v[6:7]
	v_cndmask_b32_e64 v22, 0, 1, s4
.LBB53_14:
	s_or_b32 exec_lo, exec_lo, s15
	v_cndmask_b32_e64 v14, 0, 1, vcc_lo
	v_cndmask_b32_e64 v18, 0, 1, s0
	v_cndmask_b32_e64 v16, 0, 1, s1
	v_cndmask_b32_e64 v8, 0, 1, s2
	v_cndmask_b32_e64 v6, 0, 1, s3
	s_cbranch_execnz .LBB53_27
.LBB53_15:
	s_wait_loadcnt 0x1
	v_add_f64_e64 v[24:25], v[20:21], -v[12:13]
	v_dual_add_f64 v[12:13], v[12:13], -v[10:11] :: v_dual_lshlrev_b32 v15, 3, v0
	s_wait_loadcnt 0x0
	v_add_f64_e64 v[10:11], v[10:11], -v[4:5]
	v_add_f64_e64 v[4:5], v[4:5], -v[2:3]
	v_cmp_ne_u32_e64 s3, 0, v0
	s_cmp_eq_u32 s5, 1
	v_cmp_lt_f64_e32 vcc_lo, 0x40140000, v[24:25]
	v_cmp_lt_f64_e64 s0, 0x40140000, v[12:13]
	v_cmp_lt_f64_e64 s1, 0x40140000, v[10:11]
	;; [unrolled: 1-line block ×3, first 2 shown]
	s_cbranch_scc1 .LBB53_21
; %bb.16:
	s_add_co_i32 s4, s14, 0xa5
	v_mov_b32_e32 v6, 1
	s_load_b64 s[4:5], s[8:9], s4 offset:0x0 scale_offset
	ds_store_b64 v15, v[20:21]
	s_wait_dscnt 0x0
	s_barrier_signal -1
	s_barrier_wait -1
	s_and_saveexec_b32 s15, s3
	s_cbranch_execz .LBB53_18
; %bb.17:
	v_add_nc_u32_e32 v1, -8, v15
	ds_load_b64 v[6:7], v1
	s_wait_dscnt 0x0
	v_add_f64_e64 v[6:7], v[2:3], -v[6:7]
	s_delay_alu instid0(VALU_DEP_1) | instskip(NEXT) | instid1(VALU_DEP_1)
	v_cmp_lt_f64_e64 s3, 0x40140000, v[6:7]
	v_cndmask_b32_e64 v6, 0, 1, s3
.LBB53_18:
	s_or_b32 exec_lo, exec_lo, s15
	s_wait_kmcnt 0x0
	v_mov_b64_e32 v[8:9], s[4:5]
	s_mov_b32 s4, exec_lo
	ds_store_b64 v15, v[2:3] offset:264
	s_wait_dscnt 0x0
	s_barrier_signal -1
	s_barrier_wait -1
	v_cmpx_ne_u32_e32 32, v0
; %bb.19:
	ds_load_b64 v[8:9], v15 offset:272
; %bb.20:
	s_or_b32 exec_lo, exec_lo, s4
	s_wait_dscnt 0x0
	v_add_f64_e64 v[22:23], v[8:9], -v[20:21]
	v_cndmask_b32_e64 v14, 0, 1, vcc_lo
	v_cndmask_b32_e64 v18, 0, 1, s0
	v_cndmask_b32_e64 v16, 0, 1, s1
	v_cndmask_b32_e64 v8, 0, 1, s2
	v_cmp_lt_f64_e32 vcc_lo, 0x40140000, v[22:23]
	v_cndmask_b32_e64 v22, 0, 1, vcc_lo
	s_branch .LBB53_27
.LBB53_21:
                                        ; implicit-def: $vgpr6
                                        ; implicit-def: $vgpr22
                                        ; implicit-def: $vgpr14
                                        ; implicit-def: $vgpr18
	s_cbranch_execz .LBB53_27
; %bb.22:
	s_add_co_i32 s0, s14, -1
	ds_store_b64 v15, v[20:21]
	s_load_b64 s[2:3], s[8:9], s0 offset:0x0 scale_offset
	s_wait_xcnt 0x0
	s_add_co_i32 s0, s14, 0xa5
	s_load_b64 s[0:1], s[8:9], s0 offset:0x0 scale_offset
	s_wait_dscnt 0x0
	s_barrier_signal -1
	s_barrier_wait -1
	s_wait_kmcnt 0x0
	v_mov_b64_e32 v[6:7], s[2:3]
	s_mov_b32 s2, exec_lo
	v_cmpx_ne_u32_e32 0, v0
; %bb.23:
	v_add_nc_u32_e32 v1, -8, v15
	ds_load_b64 v[6:7], v1
; %bb.24:
	s_or_b32 exec_lo, exec_lo, s2
	v_cmp_ne_u32_e32 vcc_lo, 32, v0
	v_mov_b64_e32 v[0:1], s[0:1]
	ds_store_b64 v15, v[2:3] offset:264
	s_wait_dscnt 0x0
	s_barrier_signal -1
	s_barrier_wait -1
	s_and_saveexec_b32 s0, vcc_lo
; %bb.25:
	ds_load_b64 v[0:1], v15 offset:272
; %bb.26:
	s_or_b32 exec_lo, exec_lo, s0
	v_cmp_lt_f64_e32 vcc_lo, 0x40140000, v[24:25]
	v_add_f64_e64 v[2:3], v[2:3], -v[6:7]
	s_wait_dscnt 0x0
	v_add_f64_e64 v[0:1], v[0:1], -v[20:21]
	v_cndmask_b32_e64 v14, 0, 1, vcc_lo
	v_cmp_lt_f64_e32 vcc_lo, 0x40140000, v[12:13]
	v_cndmask_b32_e64 v18, 0, 1, vcc_lo
	v_cmp_lt_f64_e32 vcc_lo, 0x40140000, v[10:11]
	;; [unrolled: 2-line block ×5, first 2 shown]
	v_cndmask_b32_e64 v22, 0, 1, vcc_lo
.LBB53_27:
	s_delay_alu instid0(VALU_DEP_2) | instskip(NEXT) | instid1(VALU_DEP_2)
	v_dual_ashrrev_i32 v17, 31, v16 :: v_dual_ashrrev_i32 v19, 31, v18
	v_dual_ashrrev_i32 v7, 31, v6 :: v_dual_ashrrev_i32 v9, 31, v8
	v_dual_mov_b32 v0, v8 :: v_dual_ashrrev_i32 v15, 31, v14
	s_wait_loadcnt 0x2
	s_delay_alu instid0(VALU_DEP_3)
	v_dual_mov_b32 v12, v18 :: v_dual_mov_b32 v13, v19
	s_add_nc_u64 s[0:1], s[10:11], s[6:7]
	s_wait_loadcnt 0x0
	v_dual_mov_b32 v1, v9 :: v_dual_mov_b32 v2, v16
	v_dual_mov_b32 v3, v17 :: v_dual_ashrrev_i32 v23, 31, v22
	global_store_b128 v27, v[16:19], s[0:1] offset:16
	s_add_nc_u64 s[2:3], s[12:13], s[6:7]
	s_clause 0x1
	global_store_b128 v27, v[6:9], s[0:1]
	global_store_b64 v26, v[14:15], s[0:1] offset:32 scale_offset
	s_clause 0x2
	global_store_b128 v27, v[12:15], s[2:3] offset:16
	global_store_b128 v27, v[0:3], s[2:3]
	global_store_b64 v26, v[22:23], s[2:3] offset:32 scale_offset
	s_endpgm
	.section	.rodata,"a",@progbits
	.p2align	6, 0x0
	.amdhsa_kernel _Z27flag_heads_and_tails_kernelIdi15custom_flag_op2IdELj33ELj5EEvPT_PxS4_
		.amdhsa_group_segment_fixed_size 528
		.amdhsa_private_segment_fixed_size 0
		.amdhsa_kernarg_size 24
		.amdhsa_user_sgpr_count 2
		.amdhsa_user_sgpr_dispatch_ptr 0
		.amdhsa_user_sgpr_queue_ptr 0
		.amdhsa_user_sgpr_kernarg_segment_ptr 1
		.amdhsa_user_sgpr_dispatch_id 0
		.amdhsa_user_sgpr_kernarg_preload_length 0
		.amdhsa_user_sgpr_kernarg_preload_offset 0
		.amdhsa_user_sgpr_private_segment_size 0
		.amdhsa_wavefront_size32 1
		.amdhsa_uses_dynamic_stack 0
		.amdhsa_enable_private_segment 0
		.amdhsa_system_sgpr_workgroup_id_x 1
		.amdhsa_system_sgpr_workgroup_id_y 0
		.amdhsa_system_sgpr_workgroup_id_z 0
		.amdhsa_system_sgpr_workgroup_info 0
		.amdhsa_system_vgpr_workitem_id 0
		.amdhsa_next_free_vgpr 28
		.amdhsa_next_free_sgpr 16
		.amdhsa_named_barrier_count 0
		.amdhsa_reserve_vcc 1
		.amdhsa_float_round_mode_32 0
		.amdhsa_float_round_mode_16_64 0
		.amdhsa_float_denorm_mode_32 3
		.amdhsa_float_denorm_mode_16_64 3
		.amdhsa_fp16_overflow 0
		.amdhsa_memory_ordered 1
		.amdhsa_forward_progress 1
		.amdhsa_inst_pref_size 12
		.amdhsa_round_robin_scheduling 0
		.amdhsa_exception_fp_ieee_invalid_op 0
		.amdhsa_exception_fp_denorm_src 0
		.amdhsa_exception_fp_ieee_div_zero 0
		.amdhsa_exception_fp_ieee_overflow 0
		.amdhsa_exception_fp_ieee_underflow 0
		.amdhsa_exception_fp_ieee_inexact 0
		.amdhsa_exception_int_div_zero 0
	.end_amdhsa_kernel
	.section	.text._Z27flag_heads_and_tails_kernelIdi15custom_flag_op2IdELj33ELj5EEvPT_PxS4_,"axG",@progbits,_Z27flag_heads_and_tails_kernelIdi15custom_flag_op2IdELj33ELj5EEvPT_PxS4_,comdat
.Lfunc_end53:
	.size	_Z27flag_heads_and_tails_kernelIdi15custom_flag_op2IdELj33ELj5EEvPT_PxS4_, .Lfunc_end53-_Z27flag_heads_and_tails_kernelIdi15custom_flag_op2IdELj33ELj5EEvPT_PxS4_
                                        ; -- End function
	.set _Z27flag_heads_and_tails_kernelIdi15custom_flag_op2IdELj33ELj5EEvPT_PxS4_.num_vgpr, 28
	.set _Z27flag_heads_and_tails_kernelIdi15custom_flag_op2IdELj33ELj5EEvPT_PxS4_.num_agpr, 0
	.set _Z27flag_heads_and_tails_kernelIdi15custom_flag_op2IdELj33ELj5EEvPT_PxS4_.numbered_sgpr, 16
	.set _Z27flag_heads_and_tails_kernelIdi15custom_flag_op2IdELj33ELj5EEvPT_PxS4_.num_named_barrier, 0
	.set _Z27flag_heads_and_tails_kernelIdi15custom_flag_op2IdELj33ELj5EEvPT_PxS4_.private_seg_size, 0
	.set _Z27flag_heads_and_tails_kernelIdi15custom_flag_op2IdELj33ELj5EEvPT_PxS4_.uses_vcc, 1
	.set _Z27flag_heads_and_tails_kernelIdi15custom_flag_op2IdELj33ELj5EEvPT_PxS4_.uses_flat_scratch, 0
	.set _Z27flag_heads_and_tails_kernelIdi15custom_flag_op2IdELj33ELj5EEvPT_PxS4_.has_dyn_sized_stack, 0
	.set _Z27flag_heads_and_tails_kernelIdi15custom_flag_op2IdELj33ELj5EEvPT_PxS4_.has_recursion, 0
	.set _Z27flag_heads_and_tails_kernelIdi15custom_flag_op2IdELj33ELj5EEvPT_PxS4_.has_indirect_call, 0
	.section	.AMDGPU.csdata,"",@progbits
; Kernel info:
; codeLenInByte = 1500
; TotalNumSgprs: 18
; NumVgprs: 28
; ScratchSize: 0
; MemoryBound: 0
; FloatMode: 240
; IeeeMode: 1
; LDSByteSize: 528 bytes/workgroup (compile time only)
; SGPRBlocks: 0
; VGPRBlocks: 1
; NumSGPRsForWavesPerEU: 18
; NumVGPRsForWavesPerEU: 28
; NamedBarCnt: 0
; Occupancy: 16
; WaveLimiterHint : 0
; COMPUTE_PGM_RSRC2:SCRATCH_EN: 0
; COMPUTE_PGM_RSRC2:USER_SGPR: 2
; COMPUTE_PGM_RSRC2:TRAP_HANDLER: 0
; COMPUTE_PGM_RSRC2:TGID_X_EN: 1
; COMPUTE_PGM_RSRC2:TGID_Y_EN: 0
; COMPUTE_PGM_RSRC2:TGID_Z_EN: 0
; COMPUTE_PGM_RSRC2:TIDIG_COMP_CNT: 0
	.section	.text._Z27flag_heads_and_tails_kernelIssN6hipcub8EqualityELj512ELj8EEvPT_PxS4_,"axG",@progbits,_Z27flag_heads_and_tails_kernelIssN6hipcub8EqualityELj512ELj8EEvPT_PxS4_,comdat
	.protected	_Z27flag_heads_and_tails_kernelIssN6hipcub8EqualityELj512ELj8EEvPT_PxS4_ ; -- Begin function _Z27flag_heads_and_tails_kernelIssN6hipcub8EqualityELj512ELj8EEvPT_PxS4_
	.globl	_Z27flag_heads_and_tails_kernelIssN6hipcub8EqualityELj512ELj8EEvPT_PxS4_
	.p2align	8
	.type	_Z27flag_heads_and_tails_kernelIssN6hipcub8EqualityELj512ELj8EEvPT_PxS4_,@function
_Z27flag_heads_and_tails_kernelIssN6hipcub8EqualityELj512ELj8EEvPT_PxS4_: ; @_Z27flag_heads_and_tails_kernelIssN6hipcub8EqualityELj512ELj8EEvPT_PxS4_
; %bb.0:
	s_clause 0x1
	s_load_b128 s[8:11], s[0:1], 0x0
	s_load_b64 s[12:13], s[0:1], 0x10
	s_bfe_u32 s2, ttmp6, 0x4000c
	s_and_b32 s3, ttmp6, 15
	s_add_co_i32 s2, s2, 1
	s_getreg_b32 s4, hwreg(HW_REG_IB_STS2, 6, 4)
	s_mul_i32 s2, ttmp9, s2
	s_mov_b32 s15, 0
	s_add_co_i32 s3, s3, s2
	s_cmp_eq_u32 s4, 0
	s_cselect_b32 s4, ttmp9, s3
	s_delay_alu instid0(SALU_CYCLE_1)
	s_lshl_b32 s14, s4, 12
	s_and_b32 s7, s4, 3
	s_lshl_b64 s[2:3], s[14:15], 1
	s_cmp_lt_i32 s7, 2
	s_wait_kmcnt 0x0
	s_add_nc_u64 s[0:1], s[8:9], s[2:3]
	global_load_b128 v[2:5], v0, s[0:1] scale_offset
	s_wait_loadcnt 0x0
	v_dual_lshlrev_b32 v1, 3, v0 :: v_dual_lshrrev_b32 v7, 16, v2
	v_dual_lshrrev_b32 v8, 16, v3 :: v_dual_lshrrev_b32 v9, 16, v4
	v_lshrrev_b32_e32 v6, 16, v5
	s_cbranch_scc1 .LBB54_8
; %bb.1:
	s_cmp_gt_i32 s7, 2
	s_cbranch_scc0 .LBB54_9
; %bb.2:
	s_delay_alu instid0(VALU_DEP_1)
	v_cmp_eq_u16_e32 vcc_lo, v6, v5
	v_lshlrev_b32_e32 v18, 1, v0
	s_mov_b32 s0, exec_lo
	v_cndmask_b32_e64 v12, 0, 1, vcc_lo
	v_cmp_eq_u16_e32 vcc_lo, v9, v4
	ds_store_b16 v18, v6
	s_wait_dscnt 0x0
	s_barrier_signal -1
	s_barrier_wait -1
	v_cndmask_b32_e64 v13, 0, 1, vcc_lo
	v_cmp_eq_u16_e32 vcc_lo, v4, v8
	v_cndmask_b32_e64 v16, 0, 1, vcc_lo
	v_cmp_eq_u16_e32 vcc_lo, v8, v3
	s_delay_alu instid0(VALU_DEP_2) | instskip(SKIP_4) | instid1(VALU_DEP_2)
	v_perm_b32 v11, v13, v16, 0x5040100
	v_cndmask_b32_e64 v19, 0, 1, vcc_lo
	v_cmp_eq_u16_e32 vcc_lo, v7, v2
	v_cndmask_b32_e64 v17, 0, 1, vcc_lo
	v_cmp_eq_u16_e32 vcc_lo, v3, v7
	v_perm_b32 v15, v17, 1, 0x5040100
	v_cndmask_b32_e64 v21, 0, 1, vcc_lo
	v_cmp_eq_u16_e32 vcc_lo, v5, v9
	s_delay_alu instid0(VALU_DEP_2) | instskip(SKIP_1) | instid1(VALU_DEP_1)
	v_perm_b32 v14, v19, v21, 0x5040100
	v_cndmask_b32_e64 v20, 0, 1, vcc_lo
	v_perm_b32 v10, v12, v20, 0x5040100
	v_cmpx_ne_u32_e32 0, v0
	s_cbranch_execz .LBB54_4
; %bb.3:
	v_add_nc_u32_e32 v22, -2, v18
	ds_load_u16 v22, v22
	s_wait_dscnt 0x0
	v_cmp_eq_u16_e32 vcc_lo, v2, v22
	v_cndmask_b32_e64 v22, 0, 1, vcc_lo
	s_delay_alu instid0(VALU_DEP_1)
	v_bfi_b32 v15, 0xffff, v22, v15
.LBB54_4:
	s_or_b32 exec_lo, exec_lo, s0
	v_perm_b32 v17, v21, v17, 0x5040100
	v_perm_b32 v16, v16, v19, 0x5040100
	;; [unrolled: 1-line block ×4, first 2 shown]
	s_mov_b32 s0, exec_lo
	ds_store_b16 v18, v2 offset:1024
	s_wait_dscnt 0x0
	s_barrier_signal -1
	s_barrier_wait -1
	v_cmpx_ne_u32_e32 0x1ff, v0
	s_cbranch_execz .LBB54_6
; %bb.5:
	ds_load_u16 v18, v18 offset:1026
	s_wait_dscnt 0x0
	v_cmp_eq_u16_e32 vcc_lo, v18, v6
	v_cndmask_b32_e64 v18, 0, 1, vcc_lo
	s_delay_alu instid0(VALU_DEP_1)
	v_perm_b32 v12, v18, v12, 0x5040100
.LBB54_6:
	s_or_b32 exec_lo, exec_lo, s0
.LBB54_7:
	s_cbranch_execz .LBB54_15
	s_branch .LBB54_27
.LBB54_8:
                                        ; implicit-def: $vgpr10
                                        ; implicit-def: $vgpr11
                                        ; implicit-def: $vgpr14
                                        ; implicit-def: $vgpr15
                                        ; implicit-def: $vgpr12
                                        ; implicit-def: $vgpr13
                                        ; implicit-def: $vgpr16
                                        ; implicit-def: $vgpr17
	s_branch .LBB54_15
.LBB54_9:
                                        ; implicit-def: $vgpr10
                                        ; implicit-def: $vgpr11
                                        ; implicit-def: $vgpr14
                                        ; implicit-def: $vgpr15
                                        ; implicit-def: $vgpr12
                                        ; implicit-def: $vgpr13
                                        ; implicit-def: $vgpr16
                                        ; implicit-def: $vgpr17
	s_cbranch_execz .LBB54_7
; %bb.10:
	s_add_co_i32 s0, s14, -1
	s_delay_alu instid0(SALU_CYCLE_1)
	v_mov_b32_e32 v10, s0
	s_mov_b32 s0, exec_lo
	global_load_u16 v12, v10, s[8:9] scale_offset
	s_wait_xcnt 0x0
	v_lshlrev_b32_e32 v10, 1, v0
	ds_store_b16 v10, v6
	s_wait_loadcnt_dscnt 0x0
	s_barrier_signal -1
	s_barrier_wait -1
	v_cmpx_ne_u32_e32 0, v0
; %bb.11:
	v_add_nc_u32_e32 v11, -2, v10
	ds_load_u16 v12, v11
; %bb.12:
	s_or_b32 exec_lo, exec_lo, s0
	v_cmp_eq_u16_e32 vcc_lo, v6, v5
	s_mov_b32 s0, exec_lo
	ds_store_b16 v10, v2 offset:1024
	s_wait_dscnt 0x0
	s_barrier_signal -1
	v_cndmask_b32_e64 v18, 0, 1, vcc_lo
	v_cmp_eq_u16_e32 vcc_lo, v5, v9
	s_barrier_wait -1
	v_cndmask_b32_e64 v19, 0, 1, vcc_lo
	v_cmp_eq_u16_e32 vcc_lo, v9, v4
	v_cndmask_b32_e64 v11, 0, 1, vcc_lo
	v_cmp_eq_u16_e32 vcc_lo, v4, v8
	s_delay_alu instid0(VALU_DEP_2)
	v_perm_b32 v13, v19, v11, 0x5040100
	v_cndmask_b32_e64 v20, 0, 1, vcc_lo
	v_cmp_eq_u16_e32 vcc_lo, v3, v7
	v_cndmask_b32_e64 v14, 0, 1, vcc_lo
	v_cmp_eq_u16_e32 vcc_lo, v7, v2
	;; [unrolled: 2-line block ×3, first 2 shown]
	s_delay_alu instid0(VALU_DEP_2) | instskip(SKIP_3) | instid1(VALU_DEP_3)
	v_perm_b32 v17, v14, v15, 0x5040100
	v_cndmask_b32_e64 v21, 0, 1, vcc_lo
	v_cmp_eq_u16_e32 vcc_lo, v2, v12
	v_perm_b32 v12, 1, v18, 0x5040100
	v_perm_b32 v16, v20, v21, 0x5040100
	v_cndmask_b32_e64 v22, 0, 1, vcc_lo
	v_cmpx_ne_u32_e32 0x1ff, v0
	s_cbranch_execz .LBB54_14
; %bb.13:
	ds_load_u16 v10, v10 offset:1026
	s_wait_dscnt 0x0
	v_cmp_eq_u16_e32 vcc_lo, v10, v6
	v_cndmask_b32_e64 v10, 0, 1, vcc_lo
	s_delay_alu instid0(VALU_DEP_1)
	v_perm_b32 v12, v10, v12, 0x5040100
.LBB54_14:
	s_or_b32 exec_lo, exec_lo, s0
	s_delay_alu instid0(VALU_DEP_2)
	v_perm_b32 v15, v15, v22, 0x5040100
	v_perm_b32 v14, v21, v14, 0x5040100
	;; [unrolled: 1-line block ×4, first 2 shown]
	s_cbranch_execnz .LBB54_27
.LBB54_15:
	s_delay_alu instid0(VALU_DEP_1)
	v_cmp_eq_u16_e64 s3, v6, v5
	v_cmp_eq_u16_e64 s0, v5, v9
	;; [unrolled: 1-line block ×7, first 2 shown]
	v_lshlrev_b32_e32 v18, 1, v0
	s_cmp_eq_u32 s7, 1
	v_cmp_ne_u32_e32 vcc_lo, 0, v0
	s_cbranch_scc1 .LBB54_21
; %bb.16:
	s_add_co_i32 s7, s14, 0x1000
	v_cndmask_b32_e64 v12, 0, 1, s3
	v_mov_b32_e32 v10, s7
	v_cndmask_b32_e64 v13, 0, 1, s4
	v_cndmask_b32_e64 v19, 0, 1, s5
	;; [unrolled: 1-line block ×4, first 2 shown]
	global_load_u16 v16, v10, s[8:9] scale_offset
	v_cndmask_b32_e64 v21, 0, 1, s1
	v_cndmask_b32_e64 v20, 0, 1, s0
	v_perm_b32 v15, v17, 1, 0x5040100
	v_perm_b32 v14, v19, v22, 0x5040100
	ds_store_b16 v18, v6
	v_perm_b32 v11, v13, v21, 0x5040100
	s_wait_xcnt 0x0
	v_perm_b32 v10, v12, v20, 0x5040100
	s_wait_loadcnt_dscnt 0x0
	s_barrier_signal -1
	s_barrier_wait -1
	s_and_saveexec_b32 s0, vcc_lo
	s_cbranch_execz .LBB54_18
; %bb.17:
	v_add_nc_u32_e32 v23, -2, v18
	ds_load_u16 v23, v23
	s_wait_dscnt 0x0
	v_cmp_eq_u16_e32 vcc_lo, v2, v23
	v_cndmask_b32_e64 v23, 0, 1, vcc_lo
	s_delay_alu instid0(VALU_DEP_1)
	v_bfi_b32 v15, 0xffff, v23, v15
.LBB54_18:
	s_or_b32 exec_lo, exec_lo, s0
	s_delay_alu instid0(SALU_CYCLE_1)
	s_mov_b32 s0, exec_lo
	ds_store_b16 v18, v2 offset:1024
	s_wait_dscnt 0x0
	s_barrier_signal -1
	s_barrier_wait -1
	v_cmpx_ne_u32_e32 0x1ff, v0
; %bb.19:
	ds_load_u16 v16, v18 offset:1026
; %bb.20:
	s_or_b32 exec_lo, exec_lo, s0
	s_wait_dscnt 0x0
	v_cmp_eq_u16_e32 vcc_lo, v16, v6
	v_perm_b32 v17, v22, v17, 0x5040100
	v_perm_b32 v16, v21, v19, 0x5040100
	;; [unrolled: 1-line block ×3, first 2 shown]
	v_cndmask_b32_e64 v23, 0, 1, vcc_lo
	s_delay_alu instid0(VALU_DEP_1)
	v_perm_b32 v12, v23, v12, 0x5040100
	s_branch .LBB54_27
.LBB54_21:
                                        ; implicit-def: $vgpr10
                                        ; implicit-def: $vgpr11
                                        ; implicit-def: $vgpr14
                                        ; implicit-def: $vgpr15
                                        ; implicit-def: $vgpr12
                                        ; implicit-def: $vgpr13
                                        ; implicit-def: $vgpr16
                                        ; implicit-def: $vgpr17
	s_cbranch_execz .LBB54_27
; %bb.22:
	s_add_co_i32 s0, s14, -1
	s_add_co_i32 s1, s14, 0x1000
	s_delay_alu instid0(SALU_CYCLE_1)
	v_dual_mov_b32 v12, s0 :: v_dual_mov_b32 v13, s1
	s_mov_b32 s0, exec_lo
	s_clause 0x1
	global_load_u16 v10, v12, s[8:9] scale_offset
	global_load_u16 v11, v13, s[8:9] scale_offset
	ds_store_b16 v18, v6
	s_wait_loadcnt_dscnt 0x0
	s_barrier_signal -1
	s_barrier_wait -1
	v_cmpx_ne_u32_e32 0, v0
; %bb.23:
	v_add_nc_u32_e32 v10, -2, v18
	ds_load_u16 v10, v10
; %bb.24:
	s_or_b32 exec_lo, exec_lo, s0
	s_delay_alu instid0(SALU_CYCLE_1)
	s_mov_b32 s0, exec_lo
	ds_store_b16 v18, v2 offset:1024
	s_wait_dscnt 0x0
	s_barrier_signal -1
	s_barrier_wait -1
	v_cmpx_ne_u32_e32 0x1ff, v0
; %bb.25:
	ds_load_u16 v11, v18 offset:1026
; %bb.26:
	s_or_b32 exec_lo, exec_lo, s0
	v_cmp_eq_u16_e32 vcc_lo, v6, v5
	v_cndmask_b32_e64 v0, 0, 1, vcc_lo
	v_cmp_eq_u16_e32 vcc_lo, v5, v9
	v_cndmask_b32_e64 v5, 0, 1, vcc_lo
	;; [unrolled: 2-line block ×3, first 2 shown]
	v_cmp_eq_u16_e32 vcc_lo, v4, v8
	s_delay_alu instid0(VALU_DEP_2) | instskip(SKIP_4) | instid1(VALU_DEP_2)
	v_perm_b32 v13, v5, v9, 0x5040100
	v_cndmask_b32_e64 v4, 0, 1, vcc_lo
	v_cmp_eq_u16_e32 vcc_lo, v8, v3
	v_cndmask_b32_e64 v8, 0, 1, vcc_lo
	v_cmp_eq_u16_e32 vcc_lo, v3, v7
	v_perm_b32 v16, v4, v8, 0x5040100
	v_cndmask_b32_e64 v3, 0, 1, vcc_lo
	v_cmp_eq_u16_e32 vcc_lo, v7, v2
	s_delay_alu instid0(VALU_DEP_2) | instskip(SKIP_4) | instid1(VALU_DEP_3)
	v_perm_b32 v14, v8, v3, 0x5040100
	v_cndmask_b32_e64 v7, 0, 1, vcc_lo
	s_wait_dscnt 0x0
	v_cmp_eq_u16_e32 vcc_lo, v11, v6
	v_perm_b32 v11, v9, v4, 0x5040100
	v_perm_b32 v17, v3, v7, 0x5040100
	v_cndmask_b32_e64 v6, 0, 1, vcc_lo
	v_cmp_eq_u16_e32 vcc_lo, v2, v10
	v_perm_b32 v10, v0, v5, 0x5040100
	s_delay_alu instid0(VALU_DEP_3) | instskip(SKIP_1) | instid1(VALU_DEP_1)
	v_perm_b32 v12, v6, v0, 0x5040100
	v_cndmask_b32_e64 v2, 0, 1, vcc_lo
	v_perm_b32 v15, v7, v2, 0x5040100
.LBB54_27:
	s_delay_alu instid0(VALU_DEP_1) | instskip(SKIP_3) | instid1(VALU_DEP_4)
	v_dual_lshrrev_b32 v2, 16, v15 :: v_dual_lshrrev_b32 v3, 16, v14
	v_bfe_i32 v0, v15, 0, 16
	v_bfe_i32 v4, v14, 0, 16
	v_lshlrev_b32_e32 v26, 3, v1
	v_bfe_i32 v2, v2, 0, 16
	v_bfe_i32 v6, v3, 0, 16
	v_ashrrev_i32_e32 v1, 31, v0
	s_lshl_b64 s[0:1], s[14:15], 3
	v_lshrrev_b32_e32 v9, 16, v10
	v_dual_ashrrev_i32 v3, 31, v2 :: v_dual_ashrrev_i32 v5, 31, v4
	v_dual_ashrrev_i32 v7, 31, v6 :: v_dual_lshrrev_b32 v8, 16, v11
	s_add_nc_u64 s[2:3], s[10:11], s[0:1]
	s_clause 0x1
	global_store_b128 v26, v[0:3], s[2:3]
	global_store_b128 v26, v[4:7], s[2:3] offset:16
	s_wait_xcnt 0x0
	v_lshrrev_b32_e32 v5, 16, v17
	v_bfe_i32 v0, v10, 0, 16
	v_lshrrev_b32_e32 v10, 16, v16
	v_bfe_i32 v18, v11, 0, 16
	;; [unrolled: 2-line block ×3, first 2 shown]
	v_bfe_i32 v22, v12, 0, 16
	v_lshrrev_b32_e32 v15, 16, v12
	v_bfe_i32 v2, v9, 0, 16
	v_bfe_i32 v4, v17, 0, 16
	;; [unrolled: 1-line block ×7, first 2 shown]
	v_dual_ashrrev_i32 v19, 31, v18 :: v_dual_ashrrev_i32 v21, 31, v20
	v_ashrrev_i32_e32 v23, 31, v22
	v_bfe_i32 v24, v15, 0, 16
	v_dual_ashrrev_i32 v1, 31, v0 :: v_dual_ashrrev_i32 v3, 31, v2
	v_dual_ashrrev_i32 v5, 31, v4 :: v_dual_ashrrev_i32 v7, 31, v6
	;; [unrolled: 1-line block ×4, first 2 shown]
	s_add_nc_u64 s[0:1], s[12:13], s[0:1]
	v_ashrrev_i32_e32 v25, 31, v24
	s_clause 0x5
	global_store_b128 v26, v[18:21], s[2:3] offset:32
	global_store_b128 v26, v[0:3], s[2:3] offset:48
	global_store_b128 v26, v[4:7], s[0:1]
	global_store_b128 v26, v[8:11], s[0:1] offset:16
	global_store_b128 v26, v[14:17], s[0:1] offset:32
	;; [unrolled: 1-line block ×3, first 2 shown]
	s_endpgm
	.section	.rodata,"a",@progbits
	.p2align	6, 0x0
	.amdhsa_kernel _Z27flag_heads_and_tails_kernelIssN6hipcub8EqualityELj512ELj8EEvPT_PxS4_
		.amdhsa_group_segment_fixed_size 2048
		.amdhsa_private_segment_fixed_size 0
		.amdhsa_kernarg_size 24
		.amdhsa_user_sgpr_count 2
		.amdhsa_user_sgpr_dispatch_ptr 0
		.amdhsa_user_sgpr_queue_ptr 0
		.amdhsa_user_sgpr_kernarg_segment_ptr 1
		.amdhsa_user_sgpr_dispatch_id 0
		.amdhsa_user_sgpr_kernarg_preload_length 0
		.amdhsa_user_sgpr_kernarg_preload_offset 0
		.amdhsa_user_sgpr_private_segment_size 0
		.amdhsa_wavefront_size32 1
		.amdhsa_uses_dynamic_stack 0
		.amdhsa_enable_private_segment 0
		.amdhsa_system_sgpr_workgroup_id_x 1
		.amdhsa_system_sgpr_workgroup_id_y 0
		.amdhsa_system_sgpr_workgroup_id_z 0
		.amdhsa_system_sgpr_workgroup_info 0
		.amdhsa_system_vgpr_workitem_id 0
		.amdhsa_next_free_vgpr 27
		.amdhsa_next_free_sgpr 16
		.amdhsa_named_barrier_count 0
		.amdhsa_reserve_vcc 1
		.amdhsa_float_round_mode_32 0
		.amdhsa_float_round_mode_16_64 0
		.amdhsa_float_denorm_mode_32 3
		.amdhsa_float_denorm_mode_16_64 3
		.amdhsa_fp16_overflow 0
		.amdhsa_memory_ordered 1
		.amdhsa_forward_progress 1
		.amdhsa_inst_pref_size 16
		.amdhsa_round_robin_scheduling 0
		.amdhsa_exception_fp_ieee_invalid_op 0
		.amdhsa_exception_fp_denorm_src 0
		.amdhsa_exception_fp_ieee_div_zero 0
		.amdhsa_exception_fp_ieee_overflow 0
		.amdhsa_exception_fp_ieee_underflow 0
		.amdhsa_exception_fp_ieee_inexact 0
		.amdhsa_exception_int_div_zero 0
	.end_amdhsa_kernel
	.section	.text._Z27flag_heads_and_tails_kernelIssN6hipcub8EqualityELj512ELj8EEvPT_PxS4_,"axG",@progbits,_Z27flag_heads_and_tails_kernelIssN6hipcub8EqualityELj512ELj8EEvPT_PxS4_,comdat
.Lfunc_end54:
	.size	_Z27flag_heads_and_tails_kernelIssN6hipcub8EqualityELj512ELj8EEvPT_PxS4_, .Lfunc_end54-_Z27flag_heads_and_tails_kernelIssN6hipcub8EqualityELj512ELj8EEvPT_PxS4_
                                        ; -- End function
	.set _Z27flag_heads_and_tails_kernelIssN6hipcub8EqualityELj512ELj8EEvPT_PxS4_.num_vgpr, 27
	.set _Z27flag_heads_and_tails_kernelIssN6hipcub8EqualityELj512ELj8EEvPT_PxS4_.num_agpr, 0
	.set _Z27flag_heads_and_tails_kernelIssN6hipcub8EqualityELj512ELj8EEvPT_PxS4_.numbered_sgpr, 16
	.set _Z27flag_heads_and_tails_kernelIssN6hipcub8EqualityELj512ELj8EEvPT_PxS4_.num_named_barrier, 0
	.set _Z27flag_heads_and_tails_kernelIssN6hipcub8EqualityELj512ELj8EEvPT_PxS4_.private_seg_size, 0
	.set _Z27flag_heads_and_tails_kernelIssN6hipcub8EqualityELj512ELj8EEvPT_PxS4_.uses_vcc, 1
	.set _Z27flag_heads_and_tails_kernelIssN6hipcub8EqualityELj512ELj8EEvPT_PxS4_.uses_flat_scratch, 0
	.set _Z27flag_heads_and_tails_kernelIssN6hipcub8EqualityELj512ELj8EEvPT_PxS4_.has_dyn_sized_stack, 0
	.set _Z27flag_heads_and_tails_kernelIssN6hipcub8EqualityELj512ELj8EEvPT_PxS4_.has_recursion, 0
	.set _Z27flag_heads_and_tails_kernelIssN6hipcub8EqualityELj512ELj8EEvPT_PxS4_.has_indirect_call, 0
	.section	.AMDGPU.csdata,"",@progbits
; Kernel info:
; codeLenInByte = 2040
; TotalNumSgprs: 18
; NumVgprs: 27
; ScratchSize: 0
; MemoryBound: 0
; FloatMode: 240
; IeeeMode: 1
; LDSByteSize: 2048 bytes/workgroup (compile time only)
; SGPRBlocks: 0
; VGPRBlocks: 1
; NumSGPRsForWavesPerEU: 18
; NumVGPRsForWavesPerEU: 27
; NamedBarCnt: 0
; Occupancy: 16
; WaveLimiterHint : 0
; COMPUTE_PGM_RSRC2:SCRATCH_EN: 0
; COMPUTE_PGM_RSRC2:USER_SGPR: 2
; COMPUTE_PGM_RSRC2:TRAP_HANDLER: 0
; COMPUTE_PGM_RSRC2:TGID_X_EN: 1
; COMPUTE_PGM_RSRC2:TGID_Y_EN: 0
; COMPUTE_PGM_RSRC2:TGID_Z_EN: 0
; COMPUTE_PGM_RSRC2:TIDIG_COMP_CNT: 0
	.section	.text._Z27flag_heads_and_tails_kernelIth15custom_flag_op2ItELj256ELj7EEvPT_PxS4_,"axG",@progbits,_Z27flag_heads_and_tails_kernelIth15custom_flag_op2ItELj256ELj7EEvPT_PxS4_,comdat
	.protected	_Z27flag_heads_and_tails_kernelIth15custom_flag_op2ItELj256ELj7EEvPT_PxS4_ ; -- Begin function _Z27flag_heads_and_tails_kernelIth15custom_flag_op2ItELj256ELj7EEvPT_PxS4_
	.globl	_Z27flag_heads_and_tails_kernelIth15custom_flag_op2ItELj256ELj7EEvPT_PxS4_
	.p2align	8
	.type	_Z27flag_heads_and_tails_kernelIth15custom_flag_op2ItELj256ELj7EEvPT_PxS4_,@function
_Z27flag_heads_and_tails_kernelIth15custom_flag_op2ItELj256ELj7EEvPT_PxS4_: ; @_Z27flag_heads_and_tails_kernelIth15custom_flag_op2ItELj256ELj7EEvPT_PxS4_
; %bb.0:
	s_load_b128 s[4:7], s[0:1], 0x0
	s_bfe_u32 s2, ttmp6, 0x4000c
	s_and_b32 s3, ttmp6, 15
	s_add_co_i32 s2, s2, 1
	s_getreg_b32 s8, hwreg(HW_REG_IB_STS2, 6, 4)
	s_mul_i32 s2, ttmp9, s2
	v_mul_u32_u24_e32 v1, 7, v0
	s_add_co_i32 s3, s3, s2
	s_cmp_eq_u32 s8, 0
	s_mov_b32 s9, 0
	s_cselect_b32 s12, ttmp9, s3
	v_lshlrev_b32_e32 v5, 1, v1
	s_mul_i32 s8, s12, 0x700
	s_load_b64 s[2:3], s[0:1], 0x10
	s_lshl_b64 s[10:11], s[8:9], 1
	s_wait_kmcnt 0x0
	s_add_nc_u64 s[0:1], s[4:5], s[10:11]
	s_clause 0x1
	global_load_b96 v[2:4], v5, s[0:1] offset:2
	global_load_b64 v[6:7], v5, s[0:1]
	s_wait_xcnt 0x0
	s_and_b32 s1, s12, 3
	s_delay_alu instid0(SALU_CYCLE_1)
	s_cmp_lt_i32 s1, 2
	s_wait_loadcnt 0x1
	v_dual_lshrrev_b32 v5, 16, v4 :: v_dual_lshrrev_b32 v10, 16, v3
	v_and_b32_e32 v4, 0xffff, v4
	s_cbranch_scc1 .LBB55_8
; %bb.1:
	s_cmp_gt_i32 s1, 2
	s_cbranch_scc0 .LBB55_9
; %bb.2:
	v_and_b32_e32 v8, 0xffff, v3
	v_and_b32_e32 v11, 0xffff, v2
	s_wait_loadcnt 0x0
	v_and_b32_e32 v16, 0xffff, v6
	v_lshrrev_b32_e32 v9, 16, v2
	v_and_b32_e32 v18, 0xffff, v10
	v_and_b32_e32 v12, 0xffff, v5
	s_mov_b32 s10, exec_lo
	s_delay_alu instid0(VALU_DEP_3) | instskip(NEXT) | instid1(VALU_DEP_3)
	v_dual_sub_nc_u32 v14, v11, v16 :: v_dual_sub_nc_u32 v13, v8, v9
	v_dual_sub_nc_u32 v11, v9, v11 :: v_dual_sub_nc_u32 v20, v4, v18
	v_sub_nc_u32_e32 v8, v18, v8
	s_delay_alu instid0(VALU_DEP_3) | instskip(NEXT) | instid1(VALU_DEP_3)
	v_cmp_lt_i32_e32 vcc_lo, 5, v13
	v_cmp_lt_i32_e64 s0, 5, v20
	v_cndmask_b32_e64 v9, 0, 1, vcc_lo
	v_cmp_lt_i32_e32 vcc_lo, 5, v14
	v_cndmask_b32_e64 v14, 0, 1, vcc_lo
	v_cmp_lt_i32_e32 vcc_lo, 5, v11
	s_delay_alu instid0(VALU_DEP_4) | instskip(NEXT) | instid1(VALU_DEP_3)
	v_lshlrev_b16 v11, 8, v9
	v_lshlrev_b16 v17, 8, v14
	v_cndmask_b32_e64 v15, 0, 1, vcc_lo
	v_lshlrev_b32_e32 v13, 1, v0
	s_delay_alu instid0(VALU_DEP_3) | instskip(NEXT) | instid1(VALU_DEP_3)
	v_dual_sub_nc_u32 v19, v12, v4 :: v_dual_bitop2_b32 v17, 1, v17 bitop3:0x54
	v_or_b32_e32 v11, v15, v11
	ds_store_b16 v13, v5
	v_cmp_lt_i32_e32 vcc_lo, 5, v19
	s_wait_dscnt 0x0
	v_and_b32_e32 v17, 0xffff, v17
	v_lshlrev_b32_e32 v18, 16, v11
	v_cndmask_b32_e64 v11, 0, 1, s0
	v_cmp_lt_i32_e64 s0, 5, v8
	s_barrier_signal -1
	s_barrier_wait -1
	v_or_b32_e32 v17, v17, v18
	s_delay_alu instid0(VALU_DEP_2)
	v_cndmask_b32_e64 v8, 0, 1, s0
	v_cmpx_ne_u32_e32 0, v0
	s_cbranch_execz .LBB55_4
; %bb.3:
	s_delay_alu instid0(VALU_DEP_3) | instskip(NEXT) | instid1(VALU_DEP_1)
	v_lshrrev_b32_e32 v19, 8, v17
	v_lshlrev_b16 v19, 8, v19
	v_add_nc_u32_e32 v18, -2, v13
	ds_load_u16 v18, v18
	s_wait_dscnt 0x0
	v_dual_sub_nc_u32 v16, v16, v18 :: v_dual_lshrrev_b32 v18, 24, v17
	v_lshrrev_b32_e32 v17, 16, v17
	s_delay_alu instid0(VALU_DEP_2) | instskip(NEXT) | instid1(VALU_DEP_3)
	v_cmp_lt_i32_e64 s0, 5, v16
	v_lshlrev_b16 v18, 8, v18
	s_delay_alu instid0(VALU_DEP_2) | instskip(NEXT) | instid1(VALU_DEP_2)
	v_cndmask_b32_e64 v16, 0, 1, s0
	v_bitop3_b16 v17, v17, v18, 0xff bitop3:0xec
	s_delay_alu instid0(VALU_DEP_1) | instskip(NEXT) | instid1(VALU_DEP_1)
	v_dual_lshlrev_b32 v17, 16, v17 :: v_dual_bitop2_b32 v16, v16, v19 bitop3:0x54
	v_and_b32_e32 v16, 0xffff, v16
	s_delay_alu instid0(VALU_DEP_1)
	v_or_b32_e32 v17, v16, v17
.LBB55_4:
	s_or_b32 exec_lo, exec_lo, s10
	v_lshlrev_b16 v15, 8, v15
	v_lshlrev_b16 v16, 8, v8
	s_mov_b32 s0, exec_lo
	ds_store_b16 v13, v6 offset:512
	s_wait_dscnt 0x0
	s_barrier_signal -1
	v_dual_mov_b32 v16, 1 :: v_dual_bitop2_b32 v9, v9, v16 bitop3:0x54
	v_or_b32_e32 v14, v14, v15
	s_barrier_wait -1
	s_delay_alu instid0(VALU_DEP_2) | instskip(SKIP_1) | instid1(VALU_DEP_3)
	v_lshlrev_b32_e32 v15, 16, v9
	v_cndmask_b32_e64 v9, 0, 1, vcc_lo
	v_and_b32_e32 v14, 0xffff, v14
	s_delay_alu instid0(VALU_DEP_1)
	v_or_b32_e32 v18, v14, v15
	v_cmpx_ne_u32_e32 0xff, v0
	s_cbranch_execz .LBB55_6
; %bb.5:
	ds_load_u16 v13, v13 offset:514
	v_perm_b32 v18, v18, v18, 0x3020104
	s_wait_dscnt 0x0
	v_sub_nc_u32_e32 v12, v13, v12
	s_delay_alu instid0(VALU_DEP_1)
	v_cmp_lt_i32_e32 vcc_lo, 5, v12
	v_cndmask_b32_e64 v16, 0, 1, vcc_lo
.LBB55_6:
	s_or_b32 exec_lo, exec_lo, s0
.LBB55_7:
	s_cbranch_execz .LBB55_15
	s_branch .LBB55_27
.LBB55_8:
                                        ; implicit-def: $vgpr8
                                        ; implicit-def: $vgpr17
                                        ; implicit-def: $vgpr16
                                        ; implicit-def: $vgpr9
                                        ; implicit-def: $vgpr11
                                        ; implicit-def: $vgpr18
	s_branch .LBB55_15
.LBB55_9:
                                        ; implicit-def: $vgpr8
                                        ; implicit-def: $vgpr17
                                        ; implicit-def: $vgpr16
                                        ; implicit-def: $vgpr9
                                        ; implicit-def: $vgpr11
                                        ; implicit-def: $vgpr18
	s_cbranch_execz .LBB55_7
; %bb.10:
	s_add_co_i32 s0, s8, -1
	s_delay_alu instid0(SALU_CYCLE_1)
	v_dual_lshlrev_b32 v12, 1, v0 :: v_dual_mov_b32 v8, s0
	s_mov_b32 s0, exec_lo
	ds_store_b16 v12, v5
	global_load_u16 v9, v8, s[4:5] scale_offset
	s_wait_loadcnt_dscnt 0x0
	s_barrier_signal -1
	s_barrier_wait -1
	v_cmpx_ne_u32_e32 0, v0
; %bb.11:
	v_add_nc_u32_e32 v8, -2, v12
	ds_load_u16 v9, v8
; %bb.12:
	s_or_b32 exec_lo, exec_lo, s0
	v_and_b32_e32 v11, 0xffff, v10
	v_and_b32_e32 v14, 0xffff, v3
	;; [unrolled: 1-line block ×3, first 2 shown]
	v_lshrrev_b32_e32 v15, 16, v2
	v_and_b32_e32 v16, 0xffff, v2
	v_and_b32_e32 v17, 0xffff, v6
	s_wait_dscnt 0x0
	v_and_b32_e32 v9, 0xffff, v9
	v_dual_sub_nc_u32 v18, v13, v4 :: v_dual_sub_nc_u32 v8, v11, v14
	v_dual_sub_nc_u32 v14, v14, v15 :: v_dual_sub_nc_u32 v19, v15, v16
	v_sub_nc_u32_e32 v15, v16, v17
	s_mov_b32 s0, exec_lo
	s_delay_alu instid0(VALU_DEP_3)
	v_cmp_lt_i32_e32 vcc_lo, 5, v8
	ds_store_b16 v12, v6 offset:512
	s_wait_dscnt 0x0
	s_barrier_signal -1
	s_barrier_wait -1
	v_cndmask_b32_e64 v8, 0, 1, vcc_lo
	v_cmp_lt_i32_e32 vcc_lo, 5, v19
	s_delay_alu instid0(VALU_DEP_2) | instskip(SKIP_2) | instid1(VALU_DEP_2)
	v_lshlrev_b16 v20, 8, v8
	v_cndmask_b32_e64 v16, 0, 1, vcc_lo
	v_cmp_lt_i32_e32 vcc_lo, 5, v14
	v_lshlrev_b16 v19, 8, v16
	v_cndmask_b32_e64 v14, 0, 1, vcc_lo
	v_cmp_lt_i32_e32 vcc_lo, 5, v15
	v_sub_nc_u32_e32 v11, v4, v11
	v_cndmask_b32_e64 v15, 0, 1, vcc_lo
	v_sub_nc_u32_e32 v17, v17, v9
	v_cmp_lt_i32_e32 vcc_lo, 5, v18
	s_delay_alu instid0(VALU_DEP_3)
	v_or_b32_e32 v18, v15, v19
	v_or_b32_e32 v19, v14, v20
	v_cndmask_b32_e64 v9, 0, 1, vcc_lo
	v_cmp_lt_i32_e32 vcc_lo, 5, v17
	v_lshlrev_b16 v15, 8, v15
	v_lshlrev_b16 v14, 8, v14
	v_and_b32_e32 v18, 0xffff, v18
	v_lshlrev_b32_e32 v19, 16, v19
	v_cndmask_b32_e64 v17, 0, 1, vcc_lo
	v_cmp_lt_i32_e32 vcc_lo, 5, v11
	v_or_b32_e32 v16, v16, v14
	s_delay_alu instid0(VALU_DEP_4) | instskip(NEXT) | instid1(VALU_DEP_4)
	v_or_b32_e32 v18, v18, v19
	v_or_b32_e32 v15, v17, v15
	v_cndmask_b32_e64 v11, 0, 1, vcc_lo
	s_delay_alu instid0(VALU_DEP_2)
	v_and_b32_e32 v14, 0xffff, v15
	v_dual_mov_b32 v16, 1 :: v_dual_lshlrev_b32 v15, 16, v16
	v_cmpx_ne_u32_e32 0xff, v0
	s_cbranch_execz .LBB55_14
; %bb.13:
	ds_load_u16 v12, v12 offset:514
	v_perm_b32 v18, v18, v18, 0x3020104
	s_wait_dscnt 0x0
	v_sub_nc_u32_e32 v12, v12, v13
	s_delay_alu instid0(VALU_DEP_1)
	v_cmp_lt_i32_e32 vcc_lo, 5, v12
	v_cndmask_b32_e64 v16, 0, 1, vcc_lo
.LBB55_14:
	s_or_b32 exec_lo, exec_lo, s0
	s_delay_alu instid0(VALU_DEP_2)
	v_or_b32_e32 v17, v14, v15
	s_cbranch_execnz .LBB55_27
.LBB55_15:
	s_delay_alu instid0(VALU_DEP_2)
	v_and_b32_e32 v12, 0xffff, v5
	v_dual_lshlrev_b32 v15, 1, v0 :: v_dual_lshrrev_b32 v13, 16, v2
	v_and_b32_e32 v2, 0xffff, v2
	v_and_b32_e32 v3, 0xffff, v3
	;; [unrolled: 1-line block ×3, first 2 shown]
	s_cmp_eq_u32 s1, 1
	v_cmp_ne_u32_e32 vcc_lo, 0, v0
	s_cbranch_scc1 .LBB55_21
; %bb.16:
	s_add_co_i32 s0, s8, 0x700
	s_wait_loadcnt 0x0
	v_and_b32_e32 v17, 0xffff, v6
	v_dual_mov_b32 v8, s0 :: v_dual_lshrrev_b32 v9, 16, v6
	ds_store_b16 v15, v5
	global_load_u16 v16, v8, s[4:5] scale_offset
	s_wait_xcnt 0x0
	v_and_b32_e32 v8, 0xffff, v7
	v_lshrrev_b32_e32 v7, 16, v7
	s_wait_loadcnt_dscnt 0x0
	s_barrier_signal -1
	s_barrier_wait -1
	v_dual_sub_nc_u32 v8, v3, v8 :: v_dual_sub_nc_u32 v9, v13, v9
	v_sub_nc_u32_e32 v7, v10, v7
	s_delay_alu instid0(VALU_DEP_2) | instskip(NEXT) | instid1(VALU_DEP_1)
	v_cmp_lt_i32_e64 s0, 5, v8
	v_cndmask_b32_e64 v10, 0, 1, s0
	s_delay_alu instid0(VALU_DEP_4) | instskip(NEXT) | instid1(VALU_DEP_2)
	v_cmp_lt_i32_e64 s0, 5, v9
	v_lshlrev_b16 v19, 8, v10
	s_delay_alu instid0(VALU_DEP_2) | instskip(SKIP_1) | instid1(VALU_DEP_2)
	v_cndmask_b32_e64 v9, 0, 1, s0
	v_cmp_lt_i32_e64 s0, 5, v7
	v_lshlrev_b16 v8, 8, v9
	v_sub_nc_u32_e32 v11, v2, v17
	s_delay_alu instid0(VALU_DEP_3) | instskip(NEXT) | instid1(VALU_DEP_3)
	v_cndmask_b32_e64 v7, 0, 1, s0
	v_lshrrev_b32_e32 v21, 8, v8
	s_delay_alu instid0(VALU_DEP_3) | instskip(NEXT) | instid1(VALU_DEP_3)
	v_cmp_lt_i32_e64 s0, 5, v11
	v_lshlrev_b16 v18, 8, v7
	s_delay_alu instid0(VALU_DEP_2) | instskip(NEXT) | instid1(VALU_DEP_2)
	v_cndmask_b32_e64 v11, 0, 1, s0
	v_bfe_u32 v8, v18, 8, 1
	s_delay_alu instid0(VALU_DEP_2) | instskip(NEXT) | instid1(VALU_DEP_1)
	v_lshlrev_b16 v20, 8, v11
	v_dual_lshrrev_b32 v18, 8, v19 :: v_dual_lshrrev_b32 v19, 8, v20
	v_lshlrev_b16 v20, 8, v21
	s_delay_alu instid0(VALU_DEP_4) | instskip(NEXT) | instid1(VALU_DEP_3)
	v_lshlrev_b16 v21, 8, v8
	v_lshlrev_b16 v18, 8, v18
	s_delay_alu instid0(VALU_DEP_4) | instskip(NEXT) | instid1(VALU_DEP_4)
	v_lshlrev_b16 v19, 8, v19
	v_or_b32_e32 v11, v11, v20
	s_delay_alu instid0(VALU_DEP_4) | instskip(NEXT) | instid1(VALU_DEP_4)
	v_dual_sub_nc_u32 v21, v12, v4 :: v_dual_bitop2_b32 v10, v10, v21 bitop3:0x54
	v_or_b32_e32 v9, v9, v18
	s_delay_alu instid0(VALU_DEP_4) | instskip(NEXT) | instid1(VALU_DEP_4)
	v_dual_sub_nc_u32 v19, v4, v14 :: v_dual_bitop2_b32 v18, 1, v19 bitop3:0x54
	v_and_b32_e32 v20, 0xffff, v11
	s_delay_alu instid0(VALU_DEP_3) | instskip(NEXT) | instid1(VALU_DEP_3)
	v_dual_lshlrev_b32 v10, 16, v10 :: v_dual_lshlrev_b32 v9, 16, v9
	v_and_b32_e32 v18, 0xffff, v18
	s_delay_alu instid0(VALU_DEP_4) | instskip(NEXT) | instid1(VALU_DEP_3)
	v_cmp_lt_i32_e64 s0, 5, v19
	v_or_b32_e32 v10, v20, v10
	s_delay_alu instid0(VALU_DEP_3) | instskip(NEXT) | instid1(VALU_DEP_3)
	v_or_b32_e32 v19, v18, v9
	v_cndmask_b32_e64 v11, 0, 1, s0
	v_cmp_lt_i32_e64 s0, 5, v21
	s_delay_alu instid0(VALU_DEP_1)
	v_cndmask_b32_e64 v9, 0, 1, s0
	s_and_saveexec_b32 s1, vcc_lo
	s_cbranch_execz .LBB55_18
; %bb.17:
	v_add_nc_u32_e32 v8, -2, v15
	v_lshrrev_b32_e32 v20, 24, v19
	ds_load_u16 v8, v8
	v_dual_lshrrev_b32 v18, 8, v19 :: v_dual_lshrrev_b32 v19, 16, v19
	v_lshlrev_b16 v20, 8, v20
	s_wait_dscnt 0x0
	v_sub_nc_u32_e32 v8, v17, v8
	v_lshlrev_b16 v17, 8, v11
	v_lshlrev_b16 v18, 8, v18
	s_delay_alu instid0(VALU_DEP_3) | instskip(NEXT) | instid1(VALU_DEP_3)
	v_cmp_lt_i32_e32 vcc_lo, 5, v8
	v_or_b32_e32 v7, v7, v17
	v_bitop3_b16 v17, v19, v20, 0xff bitop3:0xec
	v_cndmask_b32_e64 v8, 0, 1, vcc_lo
	s_delay_alu instid0(VALU_DEP_3) | instskip(NEXT) | instid1(VALU_DEP_2)
	v_and_b32_e32 v7, 0xffff, v7
	v_dual_lshlrev_b32 v17, 16, v17 :: v_dual_bitop2_b32 v8, v8, v18 bitop3:0x54
	v_cndmask_b32_e64 v18, 0, 1, s0
	s_delay_alu instid0(VALU_DEP_2) | instskip(NEXT) | instid1(VALU_DEP_2)
	v_and_b32_e32 v19, 0xffff, v8
	v_lshl_or_b32 v8, v18, 16, v7
	s_delay_alu instid0(VALU_DEP_2)
	v_or_b32_e32 v19, v19, v17
.LBB55_18:
	s_or_b32 exec_lo, exec_lo, s1
	s_delay_alu instid0(SALU_CYCLE_1)
	s_mov_b32 s0, exec_lo
	ds_store_b16 v15, v6 offset:512
	s_wait_dscnt 0x0
	s_barrier_signal -1
	s_barrier_wait -1
	v_cmpx_ne_u32_e32 0xff, v0
; %bb.19:
	ds_load_u16 v16, v15 offset:514
; %bb.20:
	s_or_b32 exec_lo, exec_lo, s0
	s_wait_dscnt 0x0
	v_and_b32_e32 v7, 0xffff, v16
	v_perm_b32 v18, v10, v10, 0x3020104
	v_perm_b32 v17, v19, v19, 0x3020104
	s_delay_alu instid0(VALU_DEP_3) | instskip(NEXT) | instid1(VALU_DEP_1)
	v_sub_nc_u32_e32 v7, v7, v12
	v_cmp_lt_i32_e32 vcc_lo, 5, v7
	v_cndmask_b32_e64 v16, 0, 1, vcc_lo
	s_branch .LBB55_27
.LBB55_21:
                                        ; implicit-def: $vgpr8
                                        ; implicit-def: $vgpr17
                                        ; implicit-def: $vgpr16
                                        ; implicit-def: $vgpr9
                                        ; implicit-def: $vgpr11
                                        ; implicit-def: $vgpr18
	s_cbranch_execz .LBB55_27
; %bb.22:
	s_add_co_i32 s0, s8, -1
	s_add_co_i32 s1, s8, 0x700
	s_delay_alu instid0(SALU_CYCLE_1)
	v_dual_mov_b32 v8, s0 :: v_dual_mov_b32 v9, s1
	s_mov_b32 s0, exec_lo
	global_load_u16 v10, v8, s[4:5] scale_offset
	s_wait_loadcnt 0x1
	global_load_u16 v7, v9, s[4:5] scale_offset
	ds_store_b16 v15, v5
	s_wait_loadcnt_dscnt 0x0
	s_barrier_signal -1
	s_barrier_wait -1
	v_cmpx_ne_u32_e32 0, v0
; %bb.23:
	v_add_nc_u32_e32 v5, -2, v15
	ds_load_u16 v10, v5
; %bb.24:
	s_or_b32 exec_lo, exec_lo, s0
	s_delay_alu instid0(SALU_CYCLE_1)
	s_mov_b32 s0, exec_lo
	ds_store_b16 v15, v6 offset:512
	s_wait_dscnt 0x0
	s_barrier_signal -1
	s_barrier_wait -1
	v_cmpx_ne_u32_e32 0xff, v0
; %bb.25:
	ds_load_u16 v7, v15 offset:514
; %bb.26:
	s_or_b32 exec_lo, exec_lo, s0
	v_dual_sub_nc_u32 v0, v12, v4 :: v_dual_sub_nc_u32 v5, v14, v3
	v_dual_sub_nc_u32 v4, v4, v14 :: v_dual_sub_nc_u32 v3, v3, v13
	s_wait_dscnt 0x0
	v_and_b32_e32 v7, 0xffff, v7
	s_delay_alu instid0(VALU_DEP_3)
	v_cmp_lt_i32_e32 vcc_lo, 5, v0
	v_and_b32_e32 v0, 0xffff, v6
	v_sub_nc_u32_e32 v6, v13, v2
	v_cndmask_b32_e64 v9, 0, 1, vcc_lo
	v_cmp_lt_i32_e32 vcc_lo, 5, v5
	v_and_b32_e32 v5, 0xffff, v10
	v_sub_nc_u32_e32 v2, v2, v0
	v_cndmask_b32_e64 v8, 0, 1, vcc_lo
	v_cmp_lt_i32_e32 vcc_lo, 5, v3
	s_delay_alu instid0(VALU_DEP_4) | instskip(NEXT) | instid1(VALU_DEP_3)
	v_sub_nc_u32_e32 v0, v0, v5
	v_lshlrev_b16 v10, 8, v8
	v_cndmask_b32_e64 v3, 0, 1, vcc_lo
	v_cmp_lt_i32_e32 vcc_lo, 5, v6
	s_delay_alu instid0(VALU_DEP_2) | instskip(SKIP_2) | instid1(VALU_DEP_2)
	v_lshlrev_b16 v13, 8, v3
	v_cndmask_b32_e64 v5, 0, 1, vcc_lo
	v_cmp_lt_i32_e32 vcc_lo, 5, v2
	v_lshlrev_b16 v6, 8, v5
	v_cndmask_b32_e64 v2, 0, 1, vcc_lo
	v_or_b32_e32 v5, v5, v13
	v_or_b32_e32 v3, v3, v10
	s_delay_alu instid0(VALU_DEP_3) | instskip(SKIP_2) | instid1(VALU_DEP_4)
	v_lshlrev_b16 v11, 8, v2
	v_or_b32_e32 v2, v2, v6
	v_cmp_lt_i32_e32 vcc_lo, 5, v0
	v_dual_lshlrev_b32 v5, 16, v5 :: v_dual_lshlrev_b32 v3, 16, v3
	v_sub_nc_u32_e32 v6, v7, v12
	s_delay_alu instid0(VALU_DEP_4) | instskip(SKIP_2) | instid1(VALU_DEP_3)
	v_and_b32_e32 v2, 0xffff, v2
	v_cndmask_b32_e64 v0, 0, 1, vcc_lo
	v_cmp_lt_i32_e32 vcc_lo, 5, v4
	v_or_b32_e32 v18, v2, v3
	s_delay_alu instid0(VALU_DEP_3) | instskip(SKIP_2) | instid1(VALU_DEP_3)
	v_or_b32_e32 v0, v0, v11
	v_cndmask_b32_e64 v11, 0, 1, vcc_lo
	v_cmp_lt_i32_e32 vcc_lo, 5, v6
	v_and_b32_e32 v0, 0xffff, v0
	v_cndmask_b32_e64 v16, 0, 1, vcc_lo
	s_delay_alu instid0(VALU_DEP_2)
	v_or_b32_e32 v17, v0, v5
.LBB55_27:
	v_dual_mov_b32 v3, 0 :: v_dual_lshlrev_b32 v0, 3, v1
	s_delay_alu instid0(VALU_DEP_2) | instskip(SKIP_2) | instid1(VALU_DEP_3)
	v_and_b32_e32 v2, 0xff, v17
	v_bfe_u32 v4, v17, 8, 8
	s_lshl_b64 s[0:1], s[8:9], 3
	v_mov_b32_e32 v5, v3
	s_add_nc_u64 s[4:5], s[6:7], s[0:1]
	s_wait_loadcnt 0x0
	v_dual_mov_b32 v7, v3 :: v_dual_lshrrev_b32 v12, 24, v18
	v_bfe_u32 v10, v18, 16, 8
	global_store_b128 v0, v[2:5], s[4:5]
	s_wait_xcnt 0x0
	v_lshrrev_b32_e32 v4, 24, v17
	v_bfe_u32 v2, v17, 16, 8
	v_and_b32_e32 v6, 0xff, v18
	s_add_nc_u64 s[0:1], s[2:3], s[0:1]
	v_dual_mov_b32 v13, v3 :: v_dual_mov_b32 v19, v3
	global_store_b128 v0, v[2:5], s[4:5] offset:16
	s_wait_xcnt 0x0
	v_and_b32_e32 v2, 0xff, v8
	v_and_b32_e32 v4, 0xff, v11
	v_mov_b32_e32 v11, v3
	v_bfe_u32 v8, v18, 8, 8
	v_mov_b32_e32 v21, v3
	global_store_b128 v0, v[2:5], s[4:5] offset:32
	s_wait_xcnt 0x0
	v_and_b32_e32 v2, 0xff, v9
	v_dual_mov_b32 v18, v4 :: v_dual_mov_b32 v9, v3
	s_delay_alu instid0(VALU_DEP_2)
	v_mov_b32_e32 v20, v2
	global_store_b64 v1, v[2:3], s[4:5] offset:48 scale_offset
	s_wait_xcnt 0x0
	v_and_b32_e32 v2, 0xff, v16
	s_clause 0x3
	global_store_b128 v0, v[10:13], s[0:1] offset:16
	global_store_b128 v0, v[18:21], s[0:1] offset:32
	global_store_b128 v0, v[6:9], s[0:1]
	global_store_b64 v1, v[2:3], s[0:1] offset:48 scale_offset
	s_endpgm
	.section	.rodata,"a",@progbits
	.p2align	6, 0x0
	.amdhsa_kernel _Z27flag_heads_and_tails_kernelIth15custom_flag_op2ItELj256ELj7EEvPT_PxS4_
		.amdhsa_group_segment_fixed_size 1024
		.amdhsa_private_segment_fixed_size 0
		.amdhsa_kernarg_size 24
		.amdhsa_user_sgpr_count 2
		.amdhsa_user_sgpr_dispatch_ptr 0
		.amdhsa_user_sgpr_queue_ptr 0
		.amdhsa_user_sgpr_kernarg_segment_ptr 1
		.amdhsa_user_sgpr_dispatch_id 0
		.amdhsa_user_sgpr_kernarg_preload_length 0
		.amdhsa_user_sgpr_kernarg_preload_offset 0
		.amdhsa_user_sgpr_private_segment_size 0
		.amdhsa_wavefront_size32 1
		.amdhsa_uses_dynamic_stack 0
		.amdhsa_enable_private_segment 0
		.amdhsa_system_sgpr_workgroup_id_x 1
		.amdhsa_system_sgpr_workgroup_id_y 0
		.amdhsa_system_sgpr_workgroup_id_z 0
		.amdhsa_system_sgpr_workgroup_info 0
		.amdhsa_system_vgpr_workitem_id 0
		.amdhsa_next_free_vgpr 22
		.amdhsa_next_free_sgpr 13
		.amdhsa_named_barrier_count 0
		.amdhsa_reserve_vcc 1
		.amdhsa_float_round_mode_32 0
		.amdhsa_float_round_mode_16_64 0
		.amdhsa_float_denorm_mode_32 3
		.amdhsa_float_denorm_mode_16_64 3
		.amdhsa_fp16_overflow 0
		.amdhsa_memory_ordered 1
		.amdhsa_forward_progress 1
		.amdhsa_inst_pref_size 21
		.amdhsa_round_robin_scheduling 0
		.amdhsa_exception_fp_ieee_invalid_op 0
		.amdhsa_exception_fp_denorm_src 0
		.amdhsa_exception_fp_ieee_div_zero 0
		.amdhsa_exception_fp_ieee_overflow 0
		.amdhsa_exception_fp_ieee_underflow 0
		.amdhsa_exception_fp_ieee_inexact 0
		.amdhsa_exception_int_div_zero 0
	.end_amdhsa_kernel
	.section	.text._Z27flag_heads_and_tails_kernelIth15custom_flag_op2ItELj256ELj7EEvPT_PxS4_,"axG",@progbits,_Z27flag_heads_and_tails_kernelIth15custom_flag_op2ItELj256ELj7EEvPT_PxS4_,comdat
.Lfunc_end55:
	.size	_Z27flag_heads_and_tails_kernelIth15custom_flag_op2ItELj256ELj7EEvPT_PxS4_, .Lfunc_end55-_Z27flag_heads_and_tails_kernelIth15custom_flag_op2ItELj256ELj7EEvPT_PxS4_
                                        ; -- End function
	.set _Z27flag_heads_and_tails_kernelIth15custom_flag_op2ItELj256ELj7EEvPT_PxS4_.num_vgpr, 22
	.set _Z27flag_heads_and_tails_kernelIth15custom_flag_op2ItELj256ELj7EEvPT_PxS4_.num_agpr, 0
	.set _Z27flag_heads_and_tails_kernelIth15custom_flag_op2ItELj256ELj7EEvPT_PxS4_.numbered_sgpr, 13
	.set _Z27flag_heads_and_tails_kernelIth15custom_flag_op2ItELj256ELj7EEvPT_PxS4_.num_named_barrier, 0
	.set _Z27flag_heads_and_tails_kernelIth15custom_flag_op2ItELj256ELj7EEvPT_PxS4_.private_seg_size, 0
	.set _Z27flag_heads_and_tails_kernelIth15custom_flag_op2ItELj256ELj7EEvPT_PxS4_.uses_vcc, 1
	.set _Z27flag_heads_and_tails_kernelIth15custom_flag_op2ItELj256ELj7EEvPT_PxS4_.uses_flat_scratch, 0
	.set _Z27flag_heads_and_tails_kernelIth15custom_flag_op2ItELj256ELj7EEvPT_PxS4_.has_dyn_sized_stack, 0
	.set _Z27flag_heads_and_tails_kernelIth15custom_flag_op2ItELj256ELj7EEvPT_PxS4_.has_recursion, 0
	.set _Z27flag_heads_and_tails_kernelIth15custom_flag_op2ItELj256ELj7EEvPT_PxS4_.has_indirect_call, 0
	.section	.AMDGPU.csdata,"",@progbits
; Kernel info:
; codeLenInByte = 2600
; TotalNumSgprs: 15
; NumVgprs: 22
; ScratchSize: 0
; MemoryBound: 0
; FloatMode: 240
; IeeeMode: 1
; LDSByteSize: 1024 bytes/workgroup (compile time only)
; SGPRBlocks: 0
; VGPRBlocks: 1
; NumSGPRsForWavesPerEU: 15
; NumVGPRsForWavesPerEU: 22
; NamedBarCnt: 0
; Occupancy: 16
; WaveLimiterHint : 0
; COMPUTE_PGM_RSRC2:SCRATCH_EN: 0
; COMPUTE_PGM_RSRC2:USER_SGPR: 2
; COMPUTE_PGM_RSRC2:TRAP_HANDLER: 0
; COMPUTE_PGM_RSRC2:TGID_X_EN: 1
; COMPUTE_PGM_RSRC2:TGID_Y_EN: 0
; COMPUTE_PGM_RSRC2:TGID_Z_EN: 0
; COMPUTE_PGM_RSRC2:TIDIG_COMP_CNT: 0
	.section	.text._Z27flag_heads_and_tails_kernelIisN10test_utils4lessELj128ELj4EEvPT_PxS4_,"axG",@progbits,_Z27flag_heads_and_tails_kernelIisN10test_utils4lessELj128ELj4EEvPT_PxS4_,comdat
	.protected	_Z27flag_heads_and_tails_kernelIisN10test_utils4lessELj128ELj4EEvPT_PxS4_ ; -- Begin function _Z27flag_heads_and_tails_kernelIisN10test_utils4lessELj128ELj4EEvPT_PxS4_
	.globl	_Z27flag_heads_and_tails_kernelIisN10test_utils4lessELj128ELj4EEvPT_PxS4_
	.p2align	8
	.type	_Z27flag_heads_and_tails_kernelIisN10test_utils4lessELj128ELj4EEvPT_PxS4_,@function
_Z27flag_heads_and_tails_kernelIisN10test_utils4lessELj128ELj4EEvPT_PxS4_: ; @_Z27flag_heads_and_tails_kernelIisN10test_utils4lessELj128ELj4EEvPT_PxS4_
; %bb.0:
	s_load_b128 s[4:7], s[0:1], 0x0
	s_bfe_u32 s2, ttmp6, 0x4000c
	s_and_b32 s3, ttmp6, 15
	s_add_co_i32 s2, s2, 1
	s_getreg_b32 s8, hwreg(HW_REG_IB_STS2, 6, 4)
	s_mul_i32 s2, ttmp9, s2
	s_mov_b32 s9, 0
	s_add_co_i32 s3, s3, s2
	s_cmp_eq_u32 s8, 0
	v_lshlrev_b32_e32 v1, 4, v0
	s_cselect_b32 s12, ttmp9, s3
	s_load_b64 s[2:3], s[0:1], 0x10
	s_lshl_b32 s8, s12, 9
	s_delay_alu instid0(SALU_CYCLE_1)
	s_lshl_b64 s[10:11], s[8:9], 2
	s_wait_kmcnt 0x0
	s_add_nc_u64 s[0:1], s[4:5], s[10:11]
	s_and_b32 s10, s12, 3
	s_clause 0x1
	global_load_b96 v[2:4], v1, s[0:1]
	global_load_b64 v[6:7], v1, s[0:1] offset:8
	s_wait_xcnt 0x0
	v_lshlrev_b32_e32 v1, 2, v0
	s_cmp_lt_i32 s10, 2
	s_cbranch_scc1 .LBB56_8
; %bb.1:
	s_cmp_gt_i32 s10, 2
	s_cbranch_scc0 .LBB56_9
; %bb.2:
	s_wait_loadcnt 0x0
	v_cmp_lt_i32_e32 vcc_lo, v6, v3
	s_mov_b32 s0, exec_lo
	ds_store_b32 v1, v7
	s_wait_dscnt 0x0
	s_barrier_signal -1
	v_cndmask_b32_e64 v5, 0, 1, vcc_lo
	v_cmp_lt_i32_e32 vcc_lo, v7, v6
	s_barrier_wait -1
	v_cndmask_b32_e64 v8, 0, 1, vcc_lo
	v_cmp_lt_i32_e32 vcc_lo, v3, v2
	s_delay_alu instid0(VALU_DEP_2) | instskip(SKIP_1) | instid1(VALU_DEP_1)
	v_perm_b32 v5, v8, v5, 0x5040100
	v_cndmask_b32_e64 v9, 0, 1, vcc_lo
	v_perm_b32 v8, v9, 1, 0x5040100
	v_cmpx_ne_u32_e32 0, v0
	s_cbranch_execz .LBB56_4
; %bb.3:
	v_add_nc_u32_e32 v10, -4, v1
	ds_load_b32 v10, v10
	s_wait_dscnt 0x0
	v_cmp_lt_i32_e32 vcc_lo, v2, v10
	v_cndmask_b32_e64 v10, 0, 1, vcc_lo
	s_delay_alu instid0(VALU_DEP_1)
	v_bfi_b32 v8, 0xffff, v10, v8
.LBB56_4:
	s_or_b32 exec_lo, exec_lo, s0
	v_perm_b32 v9, v5, v9, 0x5040100
	v_alignbit_b32 v10, 1, v5, 16
	s_mov_b32 s0, exec_lo
	ds_store_b32 v1, v2 offset:512
	s_wait_dscnt 0x0
	s_barrier_signal -1
	s_barrier_wait -1
	v_cmpx_ne_u32_e32 0x7f, v0
	s_cbranch_execz .LBB56_6
; %bb.5:
	ds_load_b32 v11, v1 offset:516
	s_wait_dscnt 0x0
	v_cmp_lt_i32_e32 vcc_lo, v11, v7
	v_cndmask_b32_e64 v11, 0, 1, vcc_lo
	s_delay_alu instid0(VALU_DEP_1)
	v_perm_b32 v10, v11, v10, 0x5040100
.LBB56_6:
	s_or_b32 exec_lo, exec_lo, s0
.LBB56_7:
	s_cbranch_execz .LBB56_15
	s_branch .LBB56_27
.LBB56_8:
                                        ; implicit-def: $vgpr5
                                        ; implicit-def: $vgpr8
                                        ; implicit-def: $vgpr10
                                        ; implicit-def: $vgpr9
	s_branch .LBB56_15
.LBB56_9:
                                        ; implicit-def: $vgpr5
                                        ; implicit-def: $vgpr8
                                        ; implicit-def: $vgpr10
                                        ; implicit-def: $vgpr9
	s_cbranch_execz .LBB56_7
; %bb.10:
	s_add_co_i32 s0, s8, -1
	s_wait_loadcnt 0x0
	ds_store_b32 v1, v7
	s_load_b32 s0, s[4:5], s0 offset:0x0 scale_offset
	s_wait_dscnt 0x0
	s_barrier_signal -1
	s_barrier_wait -1
	s_wait_kmcnt 0x0
	v_mov_b32_e32 v8, s0
	s_mov_b32 s0, exec_lo
	v_cmpx_ne_u32_e32 0, v0
; %bb.11:
	v_add_nc_u32_e32 v5, -4, v1
	ds_load_b32 v8, v5
; %bb.12:
	s_or_b32 exec_lo, exec_lo, s0
	v_cmp_lt_i32_e32 vcc_lo, v3, v2
	s_mov_b32 s0, exec_lo
	ds_store_b32 v1, v2 offset:512
	s_wait_dscnt 0x0
	s_barrier_signal -1
	v_cndmask_b32_e64 v5, 0, 1, vcc_lo
	v_cmp_lt_i32_e32 vcc_lo, v6, v3
	s_barrier_wait -1
	v_cndmask_b32_e64 v11, 0, 1, vcc_lo
	v_cmp_lt_i32_e32 vcc_lo, v7, v6
	s_delay_alu instid0(VALU_DEP_2) | instskip(SKIP_2) | instid1(VALU_DEP_2)
	v_perm_b32 v9, v11, v5, 0x5040100
	v_cndmask_b32_e64 v12, 0, 1, vcc_lo
	v_cmp_lt_i32_e32 vcc_lo, v2, v8
	v_perm_b32 v10, 1, v12, 0x5040100
	v_cndmask_b32_e64 v8, 0, 1, vcc_lo
	v_cmpx_ne_u32_e32 0x7f, v0
	s_cbranch_execz .LBB56_14
; %bb.13:
	ds_load_b32 v13, v1 offset:516
	s_wait_dscnt 0x0
	v_cmp_lt_i32_e32 vcc_lo, v13, v7
	v_cndmask_b32_e64 v13, 0, 1, vcc_lo
	s_delay_alu instid0(VALU_DEP_1)
	v_perm_b32 v10, v13, v10, 0x5040100
.LBB56_14:
	s_or_b32 exec_lo, exec_lo, s0
	s_delay_alu instid0(VALU_DEP_2)
	v_perm_b32 v8, v5, v8, 0x5040100
	v_perm_b32 v5, v12, v11, 0x5040100
	s_cbranch_execnz .LBB56_27
.LBB56_15:
	s_wait_loadcnt 0x0
	v_cmp_lt_i32_e64 s1, v6, v3
	v_cmp_lt_i32_e64 s0, v3, v2
	s_cmp_eq_u32 s10, 1
	v_cmp_ne_u32_e32 vcc_lo, 0, v0
	s_cbranch_scc1 .LBB56_21
; %bb.16:
	s_add_co_i32 s10, s8, 0x200
	v_cndmask_b32_e64 v5, 0, 1, s1
	s_load_b32 s10, s[4:5], s10 offset:0x0 scale_offset
	v_cmp_lt_i32_e64 s1, v7, v4
	v_cndmask_b32_e64 v4, 0, 1, s0
	ds_store_b32 v1, v7
	s_wait_dscnt 0x0
	s_barrier_signal -1
	v_cndmask_b32_e64 v8, 0, 1, s1
	s_barrier_wait -1
	s_delay_alu instid0(VALU_DEP_1)
	v_perm_b32 v5, v8, v5, 0x5040100
	v_perm_b32 v8, v4, 1, 0x5040100
	s_and_saveexec_b32 s0, vcc_lo
	s_cbranch_execz .LBB56_18
; %bb.17:
	v_add_nc_u32_e32 v9, -4, v1
	ds_load_b32 v9, v9
	s_wait_dscnt 0x0
	v_cmp_lt_i32_e32 vcc_lo, v2, v9
	v_cndmask_b32_e64 v9, 0, 1, vcc_lo
	s_delay_alu instid0(VALU_DEP_1)
	v_bfi_b32 v8, 0xffff, v9, v8
.LBB56_18:
	s_or_b32 exec_lo, exec_lo, s0
	s_wait_kmcnt 0x0
	v_mov_b32_e32 v9, s10
	s_mov_b32 s0, exec_lo
	ds_store_b32 v1, v2 offset:512
	s_wait_dscnt 0x0
	s_barrier_signal -1
	s_barrier_wait -1
	v_cmpx_ne_u32_e32 0x7f, v0
; %bb.19:
	ds_load_b32 v9, v1 offset:516
; %bb.20:
	s_or_b32 exec_lo, exec_lo, s0
	s_wait_dscnt 0x0
	v_cmp_lt_i32_e32 vcc_lo, v9, v7
	v_perm_b32 v9, v5, v4, 0x5040100
	v_cndmask_b32_e64 v10, 0, 1, vcc_lo
	s_delay_alu instid0(VALU_DEP_1)
	v_alignbit_b32 v10, v10, v5, 16
	s_branch .LBB56_27
.LBB56_21:
                                        ; implicit-def: $vgpr5
                                        ; implicit-def: $vgpr8
                                        ; implicit-def: $vgpr10
                                        ; implicit-def: $vgpr9
	s_cbranch_execz .LBB56_27
; %bb.22:
	s_add_co_i32 s0, s8, -1
	ds_store_b32 v1, v7
	s_load_b32 s1, s[4:5], s0 offset:0x0 scale_offset
	s_wait_xcnt 0x0
	s_add_co_i32 s0, s8, 0x200
	s_load_b32 s0, s[4:5], s0 offset:0x0 scale_offset
	s_wait_dscnt 0x0
	s_barrier_signal -1
	s_barrier_wait -1
	s_wait_kmcnt 0x0
	v_mov_b32_e32 v4, s1
	s_mov_b32 s1, exec_lo
	v_cmpx_ne_u32_e32 0, v0
; %bb.23:
	v_add_nc_u32_e32 v4, -4, v1
	ds_load_b32 v4, v4
; %bb.24:
	s_or_b32 exec_lo, exec_lo, s1
	v_cmp_ne_u32_e32 vcc_lo, 0x7f, v0
	v_mov_b32_e32 v0, s0
	ds_store_b32 v1, v2 offset:512
	s_wait_dscnt 0x0
	s_barrier_signal -1
	s_barrier_wait -1
	s_and_saveexec_b32 s0, vcc_lo
; %bb.25:
	ds_load_b32 v0, v1 offset:516
; %bb.26:
	s_or_b32 exec_lo, exec_lo, s0
	v_cmp_lt_i32_e32 vcc_lo, v6, v3
	v_cndmask_b32_e64 v8, 0, 1, vcc_lo
	v_cmp_lt_i32_e32 vcc_lo, v7, v6
	v_cndmask_b32_e64 v6, 0, 1, vcc_lo
	v_cmp_lt_i32_e32 vcc_lo, v3, v2
	s_delay_alu instid0(VALU_DEP_2) | instskip(SKIP_3) | instid1(VALU_DEP_2)
	v_perm_b32 v5, v6, v8, 0x5040100
	v_cndmask_b32_e64 v3, 0, 1, vcc_lo
	s_wait_dscnt 0x0
	v_cmp_lt_i32_e32 vcc_lo, v0, v7
	v_perm_b32 v9, v8, v3, 0x5040100
	v_cndmask_b32_e64 v0, 0, 1, vcc_lo
	v_cmp_lt_i32_e32 vcc_lo, v2, v4
	s_delay_alu instid0(VALU_DEP_2) | instskip(SKIP_1) | instid1(VALU_DEP_1)
	v_perm_b32 v10, v0, v6, 0x5040100
	v_cndmask_b32_e64 v2, 0, 1, vcc_lo
	v_perm_b32 v8, v3, v2, 0x5040100
.LBB56_27:
	s_wait_loadcnt 0x1
	s_delay_alu instid0(VALU_DEP_1) | instskip(NEXT) | instid1(VALU_DEP_2)
	v_dual_lshrrev_b32 v2, 16, v8 :: v_dual_lshlrev_b32 v16, 3, v1
	v_bfe_i32 v4, v5, 0, 16
	v_bfe_i32 v0, v8, 0, 16
	s_wait_loadcnt 0x0
	v_lshrrev_b32_e32 v6, 16, v5
	v_bfe_i32 v2, v2, 0, 16
	v_dual_lshrrev_b32 v7, 16, v9 :: v_dual_ashrrev_i32 v5, 31, v4
	v_dual_lshrrev_b32 v11, 16, v10 :: v_dual_ashrrev_i32 v1, 31, v0
	s_delay_alu instid0(VALU_DEP_4) | instskip(NEXT) | instid1(VALU_DEP_4)
	v_bfe_i32 v6, v6, 0, 16
	v_ashrrev_i32_e32 v3, 31, v2
	v_bfe_i32 v12, v9, 0, 16
	v_bfe_i32 v14, v7, 0, 16
	;; [unrolled: 1-line block ×4, first 2 shown]
	s_lshl_b64 s[0:1], s[8:9], 3
	v_dual_ashrrev_i32 v7, 31, v6 :: v_dual_ashrrev_i32 v13, 31, v12
	s_delay_alu instid0(VALU_DEP_3)
	v_dual_ashrrev_i32 v15, 31, v14 :: v_dual_ashrrev_i32 v9, 31, v8
	s_add_nc_u64 s[4:5], s[6:7], s[0:1]
	v_ashrrev_i32_e32 v11, 31, v10
	s_add_nc_u64 s[0:1], s[2:3], s[0:1]
	s_clause 0x3
	global_store_b128 v16, v[0:3], s[4:5]
	global_store_b128 v16, v[4:7], s[4:5] offset:16
	global_store_b128 v16, v[12:15], s[0:1]
	global_store_b128 v16, v[8:11], s[0:1] offset:16
	s_endpgm
	.section	.rodata,"a",@progbits
	.p2align	6, 0x0
	.amdhsa_kernel _Z27flag_heads_and_tails_kernelIisN10test_utils4lessELj128ELj4EEvPT_PxS4_
		.amdhsa_group_segment_fixed_size 1024
		.amdhsa_private_segment_fixed_size 0
		.amdhsa_kernarg_size 24
		.amdhsa_user_sgpr_count 2
		.amdhsa_user_sgpr_dispatch_ptr 0
		.amdhsa_user_sgpr_queue_ptr 0
		.amdhsa_user_sgpr_kernarg_segment_ptr 1
		.amdhsa_user_sgpr_dispatch_id 0
		.amdhsa_user_sgpr_kernarg_preload_length 0
		.amdhsa_user_sgpr_kernarg_preload_offset 0
		.amdhsa_user_sgpr_private_segment_size 0
		.amdhsa_wavefront_size32 1
		.amdhsa_uses_dynamic_stack 0
		.amdhsa_enable_private_segment 0
		.amdhsa_system_sgpr_workgroup_id_x 1
		.amdhsa_system_sgpr_workgroup_id_y 0
		.amdhsa_system_sgpr_workgroup_id_z 0
		.amdhsa_system_sgpr_workgroup_info 0
		.amdhsa_system_vgpr_workitem_id 0
		.amdhsa_next_free_vgpr 17
		.amdhsa_next_free_sgpr 13
		.amdhsa_named_barrier_count 0
		.amdhsa_reserve_vcc 1
		.amdhsa_float_round_mode_32 0
		.amdhsa_float_round_mode_16_64 0
		.amdhsa_float_denorm_mode_32 3
		.amdhsa_float_denorm_mode_16_64 3
		.amdhsa_fp16_overflow 0
		.amdhsa_memory_ordered 1
		.amdhsa_forward_progress 1
		.amdhsa_inst_pref_size 12
		.amdhsa_round_robin_scheduling 0
		.amdhsa_exception_fp_ieee_invalid_op 0
		.amdhsa_exception_fp_denorm_src 0
		.amdhsa_exception_fp_ieee_div_zero 0
		.amdhsa_exception_fp_ieee_overflow 0
		.amdhsa_exception_fp_ieee_underflow 0
		.amdhsa_exception_fp_ieee_inexact 0
		.amdhsa_exception_int_div_zero 0
	.end_amdhsa_kernel
	.section	.text._Z27flag_heads_and_tails_kernelIisN10test_utils4lessELj128ELj4EEvPT_PxS4_,"axG",@progbits,_Z27flag_heads_and_tails_kernelIisN10test_utils4lessELj128ELj4EEvPT_PxS4_,comdat
.Lfunc_end56:
	.size	_Z27flag_heads_and_tails_kernelIisN10test_utils4lessELj128ELj4EEvPT_PxS4_, .Lfunc_end56-_Z27flag_heads_and_tails_kernelIisN10test_utils4lessELj128ELj4EEvPT_PxS4_
                                        ; -- End function
	.set _Z27flag_heads_and_tails_kernelIisN10test_utils4lessELj128ELj4EEvPT_PxS4_.num_vgpr, 17
	.set _Z27flag_heads_and_tails_kernelIisN10test_utils4lessELj128ELj4EEvPT_PxS4_.num_agpr, 0
	.set _Z27flag_heads_and_tails_kernelIisN10test_utils4lessELj128ELj4EEvPT_PxS4_.numbered_sgpr, 13
	.set _Z27flag_heads_and_tails_kernelIisN10test_utils4lessELj128ELj4EEvPT_PxS4_.num_named_barrier, 0
	.set _Z27flag_heads_and_tails_kernelIisN10test_utils4lessELj128ELj4EEvPT_PxS4_.private_seg_size, 0
	.set _Z27flag_heads_and_tails_kernelIisN10test_utils4lessELj128ELj4EEvPT_PxS4_.uses_vcc, 1
	.set _Z27flag_heads_and_tails_kernelIisN10test_utils4lessELj128ELj4EEvPT_PxS4_.uses_flat_scratch, 0
	.set _Z27flag_heads_and_tails_kernelIisN10test_utils4lessELj128ELj4EEvPT_PxS4_.has_dyn_sized_stack, 0
	.set _Z27flag_heads_and_tails_kernelIisN10test_utils4lessELj128ELj4EEvPT_PxS4_.has_recursion, 0
	.set _Z27flag_heads_and_tails_kernelIisN10test_utils4lessELj128ELj4EEvPT_PxS4_.has_indirect_call, 0
	.section	.AMDGPU.csdata,"",@progbits
; Kernel info:
; codeLenInByte = 1416
; TotalNumSgprs: 15
; NumVgprs: 17
; ScratchSize: 0
; MemoryBound: 0
; FloatMode: 240
; IeeeMode: 1
; LDSByteSize: 1024 bytes/workgroup (compile time only)
; SGPRBlocks: 0
; VGPRBlocks: 1
; NumSGPRsForWavesPerEU: 15
; NumVGPRsForWavesPerEU: 17
; NamedBarCnt: 0
; Occupancy: 16
; WaveLimiterHint : 0
; COMPUTE_PGM_RSRC2:SCRATCH_EN: 0
; COMPUTE_PGM_RSRC2:USER_SGPR: 2
; COMPUTE_PGM_RSRC2:TRAP_HANDLER: 0
; COMPUTE_PGM_RSRC2:TGID_X_EN: 1
; COMPUTE_PGM_RSRC2:TGID_Y_EN: 0
; COMPUTE_PGM_RSRC2:TGID_Z_EN: 0
; COMPUTE_PGM_RSRC2:TIDIG_COMP_CNT: 0
	.section	.text._Z27flag_heads_and_tails_kernelIic15custom_flag_op2IiELj64ELj2EEvPT_PxS4_,"axG",@progbits,_Z27flag_heads_and_tails_kernelIic15custom_flag_op2IiELj64ELj2EEvPT_PxS4_,comdat
	.protected	_Z27flag_heads_and_tails_kernelIic15custom_flag_op2IiELj64ELj2EEvPT_PxS4_ ; -- Begin function _Z27flag_heads_and_tails_kernelIic15custom_flag_op2IiELj64ELj2EEvPT_PxS4_
	.globl	_Z27flag_heads_and_tails_kernelIic15custom_flag_op2IiELj64ELj2EEvPT_PxS4_
	.p2align	8
	.type	_Z27flag_heads_and_tails_kernelIic15custom_flag_op2IiELj64ELj2EEvPT_PxS4_,@function
_Z27flag_heads_and_tails_kernelIic15custom_flag_op2IiELj64ELj2EEvPT_PxS4_: ; @_Z27flag_heads_and_tails_kernelIic15custom_flag_op2IiELj64ELj2EEvPT_PxS4_
; %bb.0:
	s_load_b128 s[4:7], s[0:1], 0x0
	s_bfe_u32 s2, ttmp6, 0x4000c
	s_and_b32 s3, ttmp6, 15
	s_add_co_i32 s2, s2, 1
	s_getreg_b32 s8, hwreg(HW_REG_IB_STS2, 6, 4)
	s_mul_i32 s2, ttmp9, s2
	v_lshlrev_b32_e32 v1, 1, v0
	s_add_co_i32 s3, s3, s2
	s_cmp_eq_u32 s8, 0
	s_load_b64 s[8:9], s[0:1], 0x10
	s_cselect_b32 s12, ttmp9, s3
	s_mov_b32 s3, 0
	s_lshl_b32 s2, s12, 7
	s_delay_alu instid0(SALU_CYCLE_1)
	s_lshl_b64 s[10:11], s[2:3], 2
	s_wait_kmcnt 0x0
	s_add_nc_u64 s[0:1], s[4:5], s[10:11]
	global_load_b64 v[2:3], v0, s[0:1] scale_offset
	s_wait_xcnt 0x0
	s_and_b32 s1, s12, 3
	s_delay_alu instid0(SALU_CYCLE_1)
	s_cmp_lt_i32 s1, 2
	s_cbranch_scc1 .LBB57_8
; %bb.1:
	s_cmp_gt_i32 s1, 2
	s_cbranch_scc0 .LBB57_9
; %bb.2:
	s_wait_loadcnt 0x0
	v_dual_sub_nc_u32 v4, v3, v2 :: v_dual_lshlrev_b32 v5, 2, v0
	s_mov_b32 s0, exec_lo
	s_delay_alu instid0(VALU_DEP_1)
	v_cmp_lt_i32_e32 vcc_lo, 5, v4
	ds_store_b32 v5, v3
	s_wait_dscnt 0x0
	s_barrier_signal -1
	s_barrier_wait -1
	v_cndmask_b32_e64 v6, 0, 1, vcc_lo
	s_delay_alu instid0(VALU_DEP_1) | instskip(NEXT) | instid1(VALU_DEP_1)
	v_lshlrev_b16 v4, 8, v6
	v_or_b32_e32 v4, 1, v4
	s_delay_alu instid0(VALU_DEP_1)
	v_and_b32_e32 v4, 0xffff, v4
	v_cmpx_ne_u32_e32 0, v0
	s_cbranch_execz .LBB57_4
; %bb.3:
	v_add_nc_u32_e32 v7, -4, v5
	ds_load_b32 v7, v7
	s_wait_dscnt 0x0
	v_sub_nc_u32_e32 v7, v2, v7
	s_delay_alu instid0(VALU_DEP_1) | instskip(SKIP_1) | instid1(VALU_DEP_1)
	v_cmp_lt_i32_e32 vcc_lo, 5, v7
	v_cndmask_b32_e64 v7, 0, 1, vcc_lo
	v_bitop3_b16 v4, v7, v4, 0x100 bitop3:0xf8
	s_delay_alu instid0(VALU_DEP_1)
	v_and_b32_e32 v4, 0xffff, v4
.LBB57_4:
	s_or_b32 exec_lo, exec_lo, s0
	v_or_b32_e32 v6, 0x100, v6
	s_mov_b32 s0, exec_lo
	ds_store_b32 v5, v2 offset:256
	s_wait_dscnt 0x0
	s_barrier_signal -1
	v_and_b32_e32 v6, 0xffff, v6
	s_barrier_wait -1
	v_cmpx_ne_u32_e32 63, v0
	s_cbranch_execz .LBB57_6
; %bb.5:
	ds_load_b32 v5, v5 offset:260
	s_wait_dscnt 0x0
	v_sub_nc_u32_e32 v5, v5, v3
	s_delay_alu instid0(VALU_DEP_1) | instskip(SKIP_1) | instid1(VALU_DEP_1)
	v_cmp_lt_i32_e32 vcc_lo, 5, v5
	v_cndmask_b32_e64 v5, 0, 1, vcc_lo
	v_lshlrev_b16 v5, 8, v5
	s_delay_alu instid0(VALU_DEP_1) | instskip(NEXT) | instid1(VALU_DEP_1)
	v_bitop3_b16 v5, v6, v5, 0xff bitop3:0xec
	v_and_b32_e32 v6, 0xffff, v5
.LBB57_6:
	s_or_b32 exec_lo, exec_lo, s0
.LBB57_7:
	s_cbranch_execz .LBB57_15
	s_branch .LBB57_27
.LBB57_8:
                                        ; implicit-def: $vgpr4
                                        ; implicit-def: $vgpr6
	s_branch .LBB57_15
.LBB57_9:
                                        ; implicit-def: $vgpr4
                                        ; implicit-def: $vgpr6
	s_cbranch_execz .LBB57_7
; %bb.10:
	s_add_co_i32 s0, s2, -1
	s_load_b32 s0, s[4:5], s0 offset:0x0 scale_offset
	s_wait_kmcnt 0x0
	v_dual_mov_b32 v5, s0 :: v_dual_lshlrev_b32 v4, 2, v0
	s_mov_b32 s0, exec_lo
	s_wait_loadcnt 0x0
	ds_store_b32 v4, v3
	s_wait_dscnt 0x0
	s_barrier_signal -1
	s_barrier_wait -1
	v_cmpx_ne_u32_e32 0, v0
; %bb.11:
	v_add_nc_u32_e32 v5, -4, v4
	ds_load_b32 v5, v5
; %bb.12:
	s_or_b32 exec_lo, exec_lo, s0
	s_wait_dscnt 0x0
	v_dual_sub_nc_u32 v6, v3, v2 :: v_dual_sub_nc_u32 v5, v2, v5
	s_mov_b32 s0, exec_lo
	ds_store_b32 v4, v2 offset:256
	s_wait_dscnt 0x0
	v_cmp_lt_i32_e32 vcc_lo, 5, v6
	s_barrier_signal -1
	s_barrier_wait -1
	v_cndmask_b32_e64 v6, 0, 1, vcc_lo
	v_cmp_lt_i32_e32 vcc_lo, 5, v5
	s_delay_alu instid0(VALU_DEP_2) | instskip(SKIP_2) | instid1(VALU_DEP_2)
	v_lshlrev_b16 v7, 8, v6
	v_cndmask_b32_e64 v5, 0, 1, vcc_lo
	v_or_b32_e32 v6, 0x100, v6
	v_or_b32_e32 v5, v5, v7
	s_delay_alu instid0(VALU_DEP_2)
	v_and_b32_e32 v6, 0xffff, v6
	v_cmpx_ne_u32_e32 63, v0
	s_cbranch_execz .LBB57_14
; %bb.13:
	ds_load_b32 v4, v4 offset:260
	s_wait_dscnt 0x0
	v_sub_nc_u32_e32 v4, v4, v3
	s_delay_alu instid0(VALU_DEP_1) | instskip(SKIP_1) | instid1(VALU_DEP_1)
	v_cmp_lt_i32_e32 vcc_lo, 5, v4
	v_cndmask_b32_e64 v4, 0, 1, vcc_lo
	v_lshlrev_b16 v4, 8, v4
	s_delay_alu instid0(VALU_DEP_1) | instskip(NEXT) | instid1(VALU_DEP_1)
	v_bitop3_b16 v4, v6, v4, 0xff bitop3:0xec
	v_and_b32_e32 v6, 0xffff, v4
.LBB57_14:
	s_or_b32 exec_lo, exec_lo, s0
	v_and_b32_e32 v4, 0xffff, v5
	s_cbranch_execnz .LBB57_27
.LBB57_15:
	s_wait_loadcnt 0x0
	v_dual_sub_nc_u32 v5, v3, v2 :: v_dual_lshlrev_b32 v7, 2, v0
	s_cmp_eq_u32 s1, 1
	v_cmp_ne_u32_e32 vcc_lo, 0, v0
	s_delay_alu instid0(VALU_DEP_2)
	v_cmp_lt_i32_e64 s0, 5, v5
	s_cbranch_scc1 .LBB57_21
; %bb.16:
	s_add_co_i32 s1, s2, 0x80
	v_cndmask_b32_e64 v6, 0, 1, s0
	s_load_b32 s1, s[4:5], s1 offset:0x0 scale_offset
	ds_store_b32 v7, v3
	s_wait_dscnt 0x0
	s_barrier_signal -1
	v_lshlrev_b16 v4, 8, v6
	s_barrier_wait -1
	s_delay_alu instid0(VALU_DEP_1) | instskip(NEXT) | instid1(VALU_DEP_1)
	v_or_b32_e32 v4, 1, v4
	v_and_b32_e32 v4, 0xffff, v4
	s_and_saveexec_b32 s0, vcc_lo
	s_cbranch_execz .LBB57_18
; %bb.17:
	v_add_nc_u32_e32 v8, -4, v7
	ds_load_b32 v8, v8
	s_wait_dscnt 0x0
	v_sub_nc_u32_e32 v8, v2, v8
	s_delay_alu instid0(VALU_DEP_1) | instskip(SKIP_1) | instid1(VALU_DEP_1)
	v_cmp_lt_i32_e32 vcc_lo, 5, v8
	v_cndmask_b32_e64 v8, 0, 1, vcc_lo
	v_bitop3_b16 v4, v8, v4, 0x100 bitop3:0xf8
	s_delay_alu instid0(VALU_DEP_1)
	v_and_b32_e32 v4, 0xffff, v4
.LBB57_18:
	s_or_b32 exec_lo, exec_lo, s0
	s_wait_kmcnt 0x0
	v_mov_b32_e32 v8, s1
	s_mov_b32 s0, exec_lo
	ds_store_b32 v7, v2 offset:256
	s_wait_dscnt 0x0
	s_barrier_signal -1
	s_barrier_wait -1
	v_cmpx_ne_u32_e32 63, v0
; %bb.19:
	ds_load_b32 v8, v7 offset:260
; %bb.20:
	s_or_b32 exec_lo, exec_lo, s0
	s_wait_dscnt 0x0
	v_sub_nc_u32_e32 v8, v8, v3
	s_delay_alu instid0(VALU_DEP_1) | instskip(SKIP_1) | instid1(VALU_DEP_1)
	v_cmp_lt_i32_e32 vcc_lo, 5, v8
	v_cndmask_b32_e64 v8, 0, 1, vcc_lo
	v_lshlrev_b16 v8, 8, v8
	s_delay_alu instid0(VALU_DEP_1) | instskip(NEXT) | instid1(VALU_DEP_1)
	v_or_b32_e32 v6, v6, v8
	v_and_b32_e32 v6, 0xffff, v6
	s_branch .LBB57_27
.LBB57_21:
                                        ; implicit-def: $vgpr4
                                        ; implicit-def: $vgpr6
	s_cbranch_execz .LBB57_27
; %bb.22:
	s_add_co_i32 s0, s2, -1
	ds_store_b32 v7, v3
	s_load_b32 s1, s[4:5], s0 offset:0x0 scale_offset
	s_wait_xcnt 0x0
	s_add_co_i32 s0, s2, 0x80
	s_load_b32 s0, s[4:5], s0 offset:0x0 scale_offset
	s_wait_dscnt 0x0
	s_barrier_signal -1
	s_barrier_wait -1
	s_wait_kmcnt 0x0
	v_mov_b32_e32 v4, s1
	s_mov_b32 s1, exec_lo
	v_cmpx_ne_u32_e32 0, v0
; %bb.23:
	v_add_nc_u32_e32 v4, -4, v7
	ds_load_b32 v4, v4
; %bb.24:
	s_or_b32 exec_lo, exec_lo, s1
	v_cmp_ne_u32_e32 vcc_lo, 63, v0
	v_mov_b32_e32 v0, s0
	ds_store_b32 v7, v2 offset:256
	s_wait_dscnt 0x0
	s_barrier_signal -1
	s_barrier_wait -1
	s_and_saveexec_b32 s0, vcc_lo
; %bb.25:
	ds_load_b32 v0, v7 offset:260
; %bb.26:
	s_or_b32 exec_lo, exec_lo, s0
	s_wait_dscnt 0x0
	v_dual_sub_nc_u32 v0, v0, v3 :: v_dual_sub_nc_u32 v2, v2, v4
	v_cmp_lt_i32_e32 vcc_lo, 5, v5
	v_cndmask_b32_e64 v3, 0, 1, vcc_lo
	s_delay_alu instid0(VALU_DEP_3) | instskip(NEXT) | instid1(VALU_DEP_2)
	v_cmp_lt_i32_e32 vcc_lo, 5, v0
	v_lshlrev_b16 v4, 8, v3
	v_cndmask_b32_e64 v0, 0, 1, vcc_lo
	v_cmp_lt_i32_e32 vcc_lo, 5, v2
	s_delay_alu instid0(VALU_DEP_2) | instskip(SKIP_1) | instid1(VALU_DEP_2)
	v_lshlrev_b16 v0, 8, v0
	v_cndmask_b32_e64 v2, 0, 1, vcc_lo
	v_or_b32_e32 v0, v3, v0
	s_delay_alu instid0(VALU_DEP_2) | instskip(NEXT) | instid1(VALU_DEP_2)
	v_or_b32_e32 v2, v2, v4
	v_and_b32_e32 v6, 0xffff, v0
	s_delay_alu instid0(VALU_DEP_2)
	v_and_b32_e32 v4, 0xffff, v2
.LBB57_27:
	s_wait_loadcnt 0x0
	s_delay_alu instid0(VALU_DEP_1) | instskip(NEXT) | instid1(VALU_DEP_2)
	v_lshrrev_b16 v2, 8, v4
	v_lshrrev_b16 v3, 8, v6
	v_bfe_i32 v0, v4, 0, 8
	v_bfe_i32 v4, v6, 0, 8
	v_lshlrev_b32_e32 v8, 3, v1
	v_bfe_i32 v2, v2, 0, 8
	v_bfe_i32 v6, v3, 0, 8
	v_ashrrev_i32_e32 v1, 31, v0
	v_ashrrev_i32_e32 v5, 31, v4
	s_lshl_b64 s[0:1], s[2:3], 3
	v_ashrrev_i32_e32 v3, 31, v2
	v_ashrrev_i32_e32 v7, 31, v6
	s_add_nc_u64 s[2:3], s[6:7], s[0:1]
	s_add_nc_u64 s[0:1], s[8:9], s[0:1]
	s_clause 0x1
	global_store_b128 v8, v[0:3], s[2:3]
	global_store_b128 v8, v[4:7], s[0:1]
	s_endpgm
	.section	.rodata,"a",@progbits
	.p2align	6, 0x0
	.amdhsa_kernel _Z27flag_heads_and_tails_kernelIic15custom_flag_op2IiELj64ELj2EEvPT_PxS4_
		.amdhsa_group_segment_fixed_size 512
		.amdhsa_private_segment_fixed_size 0
		.amdhsa_kernarg_size 24
		.amdhsa_user_sgpr_count 2
		.amdhsa_user_sgpr_dispatch_ptr 0
		.amdhsa_user_sgpr_queue_ptr 0
		.amdhsa_user_sgpr_kernarg_segment_ptr 1
		.amdhsa_user_sgpr_dispatch_id 0
		.amdhsa_user_sgpr_kernarg_preload_length 0
		.amdhsa_user_sgpr_kernarg_preload_offset 0
		.amdhsa_user_sgpr_private_segment_size 0
		.amdhsa_wavefront_size32 1
		.amdhsa_uses_dynamic_stack 0
		.amdhsa_enable_private_segment 0
		.amdhsa_system_sgpr_workgroup_id_x 1
		.amdhsa_system_sgpr_workgroup_id_y 0
		.amdhsa_system_sgpr_workgroup_id_z 0
		.amdhsa_system_sgpr_workgroup_info 0
		.amdhsa_system_vgpr_workitem_id 0
		.amdhsa_next_free_vgpr 9
		.amdhsa_next_free_sgpr 13
		.amdhsa_named_barrier_count 0
		.amdhsa_reserve_vcc 1
		.amdhsa_float_round_mode_32 0
		.amdhsa_float_round_mode_16_64 0
		.amdhsa_float_denorm_mode_32 3
		.amdhsa_float_denorm_mode_16_64 3
		.amdhsa_fp16_overflow 0
		.amdhsa_memory_ordered 1
		.amdhsa_forward_progress 1
		.amdhsa_inst_pref_size 11
		.amdhsa_round_robin_scheduling 0
		.amdhsa_exception_fp_ieee_invalid_op 0
		.amdhsa_exception_fp_denorm_src 0
		.amdhsa_exception_fp_ieee_div_zero 0
		.amdhsa_exception_fp_ieee_overflow 0
		.amdhsa_exception_fp_ieee_underflow 0
		.amdhsa_exception_fp_ieee_inexact 0
		.amdhsa_exception_int_div_zero 0
	.end_amdhsa_kernel
	.section	.text._Z27flag_heads_and_tails_kernelIic15custom_flag_op2IiELj64ELj2EEvPT_PxS4_,"axG",@progbits,_Z27flag_heads_and_tails_kernelIic15custom_flag_op2IiELj64ELj2EEvPT_PxS4_,comdat
.Lfunc_end57:
	.size	_Z27flag_heads_and_tails_kernelIic15custom_flag_op2IiELj64ELj2EEvPT_PxS4_, .Lfunc_end57-_Z27flag_heads_and_tails_kernelIic15custom_flag_op2IiELj64ELj2EEvPT_PxS4_
                                        ; -- End function
	.set _Z27flag_heads_and_tails_kernelIic15custom_flag_op2IiELj64ELj2EEvPT_PxS4_.num_vgpr, 9
	.set _Z27flag_heads_and_tails_kernelIic15custom_flag_op2IiELj64ELj2EEvPT_PxS4_.num_agpr, 0
	.set _Z27flag_heads_and_tails_kernelIic15custom_flag_op2IiELj64ELj2EEvPT_PxS4_.numbered_sgpr, 13
	.set _Z27flag_heads_and_tails_kernelIic15custom_flag_op2IiELj64ELj2EEvPT_PxS4_.num_named_barrier, 0
	.set _Z27flag_heads_and_tails_kernelIic15custom_flag_op2IiELj64ELj2EEvPT_PxS4_.private_seg_size, 0
	.set _Z27flag_heads_and_tails_kernelIic15custom_flag_op2IiELj64ELj2EEvPT_PxS4_.uses_vcc, 1
	.set _Z27flag_heads_and_tails_kernelIic15custom_flag_op2IiELj64ELj2EEvPT_PxS4_.uses_flat_scratch, 0
	.set _Z27flag_heads_and_tails_kernelIic15custom_flag_op2IiELj64ELj2EEvPT_PxS4_.has_dyn_sized_stack, 0
	.set _Z27flag_heads_and_tails_kernelIic15custom_flag_op2IiELj64ELj2EEvPT_PxS4_.has_recursion, 0
	.set _Z27flag_heads_and_tails_kernelIic15custom_flag_op2IiELj64ELj2EEvPT_PxS4_.has_indirect_call, 0
	.section	.AMDGPU.csdata,"",@progbits
; Kernel info:
; codeLenInByte = 1308
; TotalNumSgprs: 15
; NumVgprs: 9
; ScratchSize: 0
; MemoryBound: 0
; FloatMode: 240
; IeeeMode: 1
; LDSByteSize: 512 bytes/workgroup (compile time only)
; SGPRBlocks: 0
; VGPRBlocks: 0
; NumSGPRsForWavesPerEU: 15
; NumVGPRsForWavesPerEU: 9
; NamedBarCnt: 0
; Occupancy: 16
; WaveLimiterHint : 0
; COMPUTE_PGM_RSRC2:SCRATCH_EN: 0
; COMPUTE_PGM_RSRC2:USER_SGPR: 2
; COMPUTE_PGM_RSRC2:TRAP_HANDLER: 0
; COMPUTE_PGM_RSRC2:TGID_X_EN: 1
; COMPUTE_PGM_RSRC2:TGID_Y_EN: 0
; COMPUTE_PGM_RSRC2:TGID_Z_EN: 0
; COMPUTE_PGM_RSRC2:TIDIG_COMP_CNT: 0
	.section	.text._Z27flag_heads_and_tails_kernelIhbN6hipcub8EqualityELj255ELj1EEvPT_PxS4_,"axG",@progbits,_Z27flag_heads_and_tails_kernelIhbN6hipcub8EqualityELj255ELj1EEvPT_PxS4_,comdat
	.protected	_Z27flag_heads_and_tails_kernelIhbN6hipcub8EqualityELj255ELj1EEvPT_PxS4_ ; -- Begin function _Z27flag_heads_and_tails_kernelIhbN6hipcub8EqualityELj255ELj1EEvPT_PxS4_
	.globl	_Z27flag_heads_and_tails_kernelIhbN6hipcub8EqualityELj255ELj1EEvPT_PxS4_
	.p2align	8
	.type	_Z27flag_heads_and_tails_kernelIhbN6hipcub8EqualityELj255ELj1EEvPT_PxS4_,@function
_Z27flag_heads_and_tails_kernelIhbN6hipcub8EqualityELj255ELj1EEvPT_PxS4_: ; @_Z27flag_heads_and_tails_kernelIhbN6hipcub8EqualityELj255ELj1EEvPT_PxS4_
; %bb.0:
	s_load_b128 s[4:7], s[0:1], 0x0
	s_bfe_u32 s2, ttmp6, 0x4000c
	s_and_b32 s3, ttmp6, 15
	s_add_co_i32 s2, s2, 1
	s_getreg_b32 s8, hwreg(HW_REG_IB_STS2, 6, 4)
	s_mul_i32 s2, ttmp9, s2
	s_mov_b32 s9, 0
	s_add_co_i32 s3, s3, s2
	s_cmp_eq_u32 s8, 0
	s_cselect_b32 s10, ttmp9, s3
	s_load_b64 s[2:3], s[0:1], 0x10
	s_mul_i32 s8, s10, 0xff
	s_wait_kmcnt 0x0
	s_add_nc_u64 s[0:1], s[4:5], s[8:9]
	global_load_u8 v1, v0, s[0:1]
	s_wait_xcnt 0x0
	s_and_b32 s1, s10, 3
	s_delay_alu instid0(SALU_CYCLE_1)
	s_cmp_lt_i32 s1, 2
	s_cbranch_scc1 .LBB58_8
; %bb.1:
	s_cmp_gt_i32 s1, 2
	s_cbranch_scc0 .LBB58_9
; %bb.2:
	v_mov_b32_e32 v2, 1
	s_mov_b32 s0, exec_lo
	s_wait_loadcnt 0x0
	ds_store_b8 v0, v1
	s_wait_dscnt 0x0
	s_barrier_signal -1
	s_barrier_wait -1
	v_cmpx_ne_u32_e32 0, v0
	s_cbranch_execz .LBB58_4
; %bb.3:
	v_add_nc_u32_e32 v2, -1, v0
	v_and_b32_e32 v3, 0xff, v1
	ds_load_u8 v2, v2
	s_wait_dscnt 0x0
	v_cmp_eq_u16_e32 vcc_lo, v3, v2
	v_cndmask_b32_e64 v2, 0, 1, vcc_lo
.LBB58_4:
	s_or_b32 exec_lo, exec_lo, s0
	s_mov_b32 s10, -1
	s_mov_b32 s0, exec_lo
	ds_store_b8 v0, v1 offset:255
	s_wait_dscnt 0x0
	s_barrier_signal -1
	s_barrier_wait -1
	v_cmpx_ne_u32_e32 0xfe, v0
	s_cbranch_execz .LBB58_6
; %bb.5:
	ds_load_u8 v3, v0 offset:256
	v_and_b32_e32 v4, 0xff, v1
	s_wait_dscnt 0x0
	s_delay_alu instid0(VALU_DEP_1)
	v_cmp_eq_u16_e32 vcc_lo, v3, v4
	s_or_not1_b32 s10, vcc_lo, exec_lo
.LBB58_6:
	s_or_b32 exec_lo, exec_lo, s0
.LBB58_7:
	s_cbranch_execz .LBB58_15
	s_branch .LBB58_27
.LBB58_8:
                                        ; implicit-def: $sgpr10
                                        ; implicit-def: $vgpr2
	s_branch .LBB58_15
.LBB58_9:
                                        ; implicit-def: $sgpr10
                                        ; implicit-def: $vgpr2
	s_cbranch_execz .LBB58_7
; %bb.10:
	s_add_co_i32 s0, s8, -1
	s_mov_b32 s10, -1
	v_mov_b32_e32 v2, s0
	s_mov_b32 s0, exec_lo
	s_wait_loadcnt 0x0
	ds_store_b8 v0, v1
	global_load_u8 v2, v2, s[4:5]
	s_wait_loadcnt_dscnt 0x0
	s_barrier_signal -1
	s_barrier_wait -1
	v_cmpx_ne_u32_e32 0, v0
; %bb.11:
	v_add_nc_u32_e32 v2, -1, v0
	ds_load_u8 v2, v2
; %bb.12:
	s_or_b32 exec_lo, exec_lo, s0
	s_wait_dscnt 0x0
	v_and_b32_e32 v3, 0xff, v2
	v_and_b32_e32 v2, 0xff, v1
	s_mov_b32 s11, exec_lo
	ds_store_b8 v0, v1 offset:255
	s_wait_dscnt 0x0
	s_barrier_signal -1
	v_cmp_eq_u16_e32 vcc_lo, v2, v3
	s_barrier_wait -1
	v_cmpx_ne_u32_e32 0xfe, v0
	s_cbranch_execz .LBB58_14
; %bb.13:
	ds_load_u8 v3, v0 offset:256
	s_wait_dscnt 0x0
	v_cmp_eq_u16_e64 s0, v3, v2
	s_or_not1_b32 s10, s0, exec_lo
.LBB58_14:
	s_or_b32 exec_lo, exec_lo, s11
	v_cndmask_b32_e64 v2, 0, 1, vcc_lo
	s_cbranch_execnz .LBB58_27
.LBB58_15:
	s_cmp_eq_u32 s1, 1
	v_cmp_ne_u32_e32 vcc_lo, 0, v0
	s_cbranch_scc1 .LBB58_21
; %bb.16:
	s_add_co_i32 s0, s8, 0xff
	s_wait_loadcnt 0x0
	ds_store_b8 v0, v1
	v_mov_b32_e32 v2, s0
	global_load_u8 v3, v2, s[4:5]
	s_wait_xcnt 0x0
	v_mov_b32_e32 v2, 1
	s_wait_loadcnt_dscnt 0x0
	s_barrier_signal -1
	s_barrier_wait -1
	s_and_saveexec_b32 s0, vcc_lo
	s_cbranch_execz .LBB58_18
; %bb.17:
	v_add_nc_u32_e32 v2, -1, v0
	v_and_b32_e32 v4, 0xff, v1
	ds_load_u8 v2, v2
	s_wait_dscnt 0x0
	v_cmp_eq_u16_e32 vcc_lo, v4, v2
	v_cndmask_b32_e64 v2, 0, 1, vcc_lo
.LBB58_18:
	s_or_b32 exec_lo, exec_lo, s0
	s_delay_alu instid0(SALU_CYCLE_1)
	s_mov_b32 s0, exec_lo
	ds_store_b8 v0, v1 offset:255
	s_wait_dscnt 0x0
	s_barrier_signal -1
	s_barrier_wait -1
	v_cmpx_ne_u32_e32 0xfe, v0
; %bb.19:
	ds_load_u8 v3, v0 offset:256
; %bb.20:
	s_or_b32 exec_lo, exec_lo, s0
	v_and_b32_e32 v4, 0xff, v1
	s_wait_dscnt 0x0
	v_and_b32_e32 v3, 0xff, v3
	s_delay_alu instid0(VALU_DEP_1)
	v_cmp_eq_u16_e64 s10, v3, v4
	s_branch .LBB58_27
.LBB58_21:
                                        ; implicit-def: $sgpr10
                                        ; implicit-def: $vgpr2
	s_cbranch_execz .LBB58_27
; %bb.22:
	s_add_co_i32 s0, s8, -1
	s_add_co_i32 s1, s8, 0xff
	s_delay_alu instid0(SALU_CYCLE_1)
	v_dual_mov_b32 v4, s0 :: v_dual_mov_b32 v5, s1
	s_mov_b32 s0, exec_lo
	s_clause 0x1
	global_load_u8 v3, v4, s[4:5]
	global_load_u8 v2, v5, s[4:5]
	s_wait_loadcnt 0x2
	ds_store_b8 v0, v1
	s_wait_loadcnt_dscnt 0x0
	s_barrier_signal -1
	s_barrier_wait -1
	v_cmpx_ne_u32_e32 0, v0
; %bb.23:
	v_add_nc_u32_e32 v3, -1, v0
	ds_load_u8 v3, v3
; %bb.24:
	s_or_b32 exec_lo, exec_lo, s0
	s_delay_alu instid0(SALU_CYCLE_1)
	s_mov_b32 s0, exec_lo
	ds_store_b8 v0, v1 offset:255
	s_wait_dscnt 0x0
	s_barrier_signal -1
	s_barrier_wait -1
	v_cmpx_ne_u32_e32 0xfe, v0
; %bb.25:
	ds_load_u8 v2, v0 offset:256
; %bb.26:
	s_or_b32 exec_lo, exec_lo, s0
	v_and_b32_e32 v3, 0xff, v3
	v_and_b32_e32 v1, 0xff, v1
	s_wait_dscnt 0x0
	v_and_b32_e32 v4, 0xff, v2
	s_delay_alu instid0(VALU_DEP_2) | instskip(NEXT) | instid1(VALU_DEP_2)
	v_cmp_eq_u16_e32 vcc_lo, v1, v3
	v_cmp_eq_u16_e64 s10, v4, v1
	v_cndmask_b32_e64 v2, 0, 1, vcc_lo
.LBB58_27:
	s_mov_b32 s4, 0
	s_delay_alu instid0(VALU_DEP_1)
	v_and_b32_e32 v2, 0xff, v2
	v_dual_mov_b32 v3, 0 :: v_dual_mov_b32 v5, s4
	s_lshl_b64 s[0:1], s[8:9], 3
	v_cndmask_b32_e64 v4, 0, 1, s10
	s_add_nc_u64 s[4:5], s[6:7], s[0:1]
	s_add_nc_u64 s[0:1], s[2:3], s[0:1]
	s_clause 0x1
	global_store_b64 v0, v[2:3], s[4:5] scale_offset
	global_store_b64 v0, v[4:5], s[0:1] scale_offset
	s_endpgm
	.section	.rodata,"a",@progbits
	.p2align	6, 0x0
	.amdhsa_kernel _Z27flag_heads_and_tails_kernelIhbN6hipcub8EqualityELj255ELj1EEvPT_PxS4_
		.amdhsa_group_segment_fixed_size 510
		.amdhsa_private_segment_fixed_size 0
		.amdhsa_kernarg_size 24
		.amdhsa_user_sgpr_count 2
		.amdhsa_user_sgpr_dispatch_ptr 0
		.amdhsa_user_sgpr_queue_ptr 0
		.amdhsa_user_sgpr_kernarg_segment_ptr 1
		.amdhsa_user_sgpr_dispatch_id 0
		.amdhsa_user_sgpr_kernarg_preload_length 0
		.amdhsa_user_sgpr_kernarg_preload_offset 0
		.amdhsa_user_sgpr_private_segment_size 0
		.amdhsa_wavefront_size32 1
		.amdhsa_uses_dynamic_stack 0
		.amdhsa_enable_private_segment 0
		.amdhsa_system_sgpr_workgroup_id_x 1
		.amdhsa_system_sgpr_workgroup_id_y 0
		.amdhsa_system_sgpr_workgroup_id_z 0
		.amdhsa_system_sgpr_workgroup_info 0
		.amdhsa_system_vgpr_workitem_id 0
		.amdhsa_next_free_vgpr 6
		.amdhsa_next_free_sgpr 12
		.amdhsa_named_barrier_count 0
		.amdhsa_reserve_vcc 1
		.amdhsa_float_round_mode_32 0
		.amdhsa_float_round_mode_16_64 0
		.amdhsa_float_denorm_mode_32 3
		.amdhsa_float_denorm_mode_16_64 3
		.amdhsa_fp16_overflow 0
		.amdhsa_memory_ordered 1
		.amdhsa_forward_progress 1
		.amdhsa_inst_pref_size 8
		.amdhsa_round_robin_scheduling 0
		.amdhsa_exception_fp_ieee_invalid_op 0
		.amdhsa_exception_fp_denorm_src 0
		.amdhsa_exception_fp_ieee_div_zero 0
		.amdhsa_exception_fp_ieee_overflow 0
		.amdhsa_exception_fp_ieee_underflow 0
		.amdhsa_exception_fp_ieee_inexact 0
		.amdhsa_exception_int_div_zero 0
	.end_amdhsa_kernel
	.section	.text._Z27flag_heads_and_tails_kernelIhbN6hipcub8EqualityELj255ELj1EEvPT_PxS4_,"axG",@progbits,_Z27flag_heads_and_tails_kernelIhbN6hipcub8EqualityELj255ELj1EEvPT_PxS4_,comdat
.Lfunc_end58:
	.size	_Z27flag_heads_and_tails_kernelIhbN6hipcub8EqualityELj255ELj1EEvPT_PxS4_, .Lfunc_end58-_Z27flag_heads_and_tails_kernelIhbN6hipcub8EqualityELj255ELj1EEvPT_PxS4_
                                        ; -- End function
	.set _Z27flag_heads_and_tails_kernelIhbN6hipcub8EqualityELj255ELj1EEvPT_PxS4_.num_vgpr, 6
	.set _Z27flag_heads_and_tails_kernelIhbN6hipcub8EqualityELj255ELj1EEvPT_PxS4_.num_agpr, 0
	.set _Z27flag_heads_and_tails_kernelIhbN6hipcub8EqualityELj255ELj1EEvPT_PxS4_.numbered_sgpr, 12
	.set _Z27flag_heads_and_tails_kernelIhbN6hipcub8EqualityELj255ELj1EEvPT_PxS4_.num_named_barrier, 0
	.set _Z27flag_heads_and_tails_kernelIhbN6hipcub8EqualityELj255ELj1EEvPT_PxS4_.private_seg_size, 0
	.set _Z27flag_heads_and_tails_kernelIhbN6hipcub8EqualityELj255ELj1EEvPT_PxS4_.uses_vcc, 1
	.set _Z27flag_heads_and_tails_kernelIhbN6hipcub8EqualityELj255ELj1EEvPT_PxS4_.uses_flat_scratch, 0
	.set _Z27flag_heads_and_tails_kernelIhbN6hipcub8EqualityELj255ELj1EEvPT_PxS4_.has_dyn_sized_stack, 0
	.set _Z27flag_heads_and_tails_kernelIhbN6hipcub8EqualityELj255ELj1EEvPT_PxS4_.has_recursion, 0
	.set _Z27flag_heads_and_tails_kernelIhbN6hipcub8EqualityELj255ELj1EEvPT_PxS4_.has_indirect_call, 0
	.section	.AMDGPU.csdata,"",@progbits
; Kernel info:
; codeLenInByte = 940
; TotalNumSgprs: 14
; NumVgprs: 6
; ScratchSize: 0
; MemoryBound: 0
; FloatMode: 240
; IeeeMode: 1
; LDSByteSize: 510 bytes/workgroup (compile time only)
; SGPRBlocks: 0
; VGPRBlocks: 0
; NumSGPRsForWavesPerEU: 14
; NumVGPRsForWavesPerEU: 6
; NamedBarCnt: 0
; Occupancy: 16
; WaveLimiterHint : 0
; COMPUTE_PGM_RSRC2:SCRATCH_EN: 0
; COMPUTE_PGM_RSRC2:USER_SGPR: 2
; COMPUTE_PGM_RSRC2:TRAP_HANDLER: 0
; COMPUTE_PGM_RSRC2:TGID_X_EN: 1
; COMPUTE_PGM_RSRC2:TGID_Y_EN: 0
; COMPUTE_PGM_RSRC2:TGID_Z_EN: 0
; COMPUTE_PGM_RSRC2:TIDIG_COMP_CNT: 0
	.section	.text._Z27flag_heads_and_tails_kernelIjxN6hipcub10InequalityELj162ELj1EEvPT_PxS4_,"axG",@progbits,_Z27flag_heads_and_tails_kernelIjxN6hipcub10InequalityELj162ELj1EEvPT_PxS4_,comdat
	.protected	_Z27flag_heads_and_tails_kernelIjxN6hipcub10InequalityELj162ELj1EEvPT_PxS4_ ; -- Begin function _Z27flag_heads_and_tails_kernelIjxN6hipcub10InequalityELj162ELj1EEvPT_PxS4_
	.globl	_Z27flag_heads_and_tails_kernelIjxN6hipcub10InequalityELj162ELj1EEvPT_PxS4_
	.p2align	8
	.type	_Z27flag_heads_and_tails_kernelIjxN6hipcub10InequalityELj162ELj1EEvPT_PxS4_,@function
_Z27flag_heads_and_tails_kernelIjxN6hipcub10InequalityELj162ELj1EEvPT_PxS4_: ; @_Z27flag_heads_and_tails_kernelIjxN6hipcub10InequalityELj162ELj1EEvPT_PxS4_
; %bb.0:
	s_load_b128 s[4:7], s[0:1], 0x0
	s_bfe_u32 s2, ttmp6, 0x4000c
	s_and_b32 s3, ttmp6, 15
	s_add_co_i32 s2, s2, 1
	s_getreg_b32 s8, hwreg(HW_REG_IB_STS2, 6, 4)
	s_mul_i32 s2, ttmp9, s2
	s_wait_xcnt 0x0
	s_load_b64 s[0:1], s[0:1], 0x10
	s_add_co_i32 s3, s3, s2
	s_cmp_eq_u32 s8, 0
	s_cselect_b32 s10, ttmp9, s3
	s_mov_b32 s3, 0
	s_mul_i32 s2, s10, 0xa2
	s_delay_alu instid0(SALU_CYCLE_1)
	s_lshl_b64 s[8:9], s[2:3], 2
	s_wait_kmcnt 0x0
	s_add_nc_u64 s[8:9], s[4:5], s[8:9]
	global_load_b32 v1, v0, s[8:9] scale_offset
	s_wait_xcnt 0x0
	s_and_b32 s8, s10, 3
	s_delay_alu instid0(SALU_CYCLE_1)
	s_cmp_lt_i32 s8, 2
	s_cbranch_scc1 .LBB59_8
; %bb.1:
	s_cmp_gt_i32 s8, 2
	s_cbranch_scc0 .LBB59_9
; %bb.2:
	v_mov_b64_e32 v[2:3], 1
	v_lshlrev_b32_e32 v4, 2, v0
	s_mov_b32 s10, 0
	s_mov_b32 s9, exec_lo
	s_wait_loadcnt 0x0
	ds_store_b32 v4, v1
	s_wait_dscnt 0x0
	s_barrier_signal -1
	s_barrier_wait -1
	v_cmpx_ne_u32_e32 0, v0
	s_cbranch_execz .LBB59_4
; %bb.3:
	v_dual_mov_b32 v3, s10 :: v_dual_add_nc_u32 v2, -4, v4
	ds_load_b32 v2, v2
	s_wait_dscnt 0x0
	v_cmp_ne_u32_e32 vcc_lo, v1, v2
	v_cndmask_b32_e64 v2, 0, 1, vcc_lo
.LBB59_4:
	s_or_b32 exec_lo, exec_lo, s9
	s_mov_b32 s9, -1
	s_mov_b32 s10, exec_lo
	ds_store_b32 v4, v1 offset:648
	s_wait_dscnt 0x0
	s_barrier_signal -1
	s_barrier_wait -1
	v_cmpx_ne_u32_e32 0xa1, v0
	s_cbranch_execz .LBB59_6
; %bb.5:
	ds_load_b32 v4, v4 offset:652
	s_wait_dscnt 0x0
	v_cmp_ne_u32_e32 vcc_lo, v4, v1
	s_or_not1_b32 s9, vcc_lo, exec_lo
.LBB59_6:
	s_or_b32 exec_lo, exec_lo, s10
.LBB59_7:
	s_cbranch_execz .LBB59_15
	s_branch .LBB59_27
.LBB59_8:
                                        ; implicit-def: $sgpr9
                                        ; implicit-def: $vgpr2_vgpr3
	s_branch .LBB59_15
.LBB59_9:
                                        ; implicit-def: $sgpr9
                                        ; implicit-def: $vgpr2_vgpr3
	s_cbranch_execz .LBB59_7
; %bb.10:
	s_add_co_i32 s9, s2, -1
	s_mov_b32 s11, exec_lo
	s_load_b32 s10, s[4:5], s9 offset:0x0 scale_offset
	v_lshlrev_b32_e32 v3, 2, v0
	s_wait_xcnt 0x0
	s_mov_b32 s9, -1
	s_wait_kmcnt 0x0
	v_mov_b32_e32 v2, s10
	s_mov_b32 s10, 0
	s_wait_loadcnt 0x0
	ds_store_b32 v3, v1
	s_wait_dscnt 0x0
	s_barrier_signal -1
	s_barrier_wait -1
	v_cmpx_ne_u32_e32 0, v0
; %bb.11:
	v_add_nc_u32_e32 v2, -4, v3
	ds_load_b32 v2, v2
; %bb.12:
	s_or_b32 exec_lo, exec_lo, s11
	s_wait_dscnt 0x0
	v_cmp_ne_u32_e32 vcc_lo, v1, v2
	s_mov_b32 s11, exec_lo
	ds_store_b32 v3, v1 offset:648
	s_wait_dscnt 0x0
	s_barrier_signal -1
	v_cndmask_b32_e64 v2, 0, 1, vcc_lo
	s_barrier_wait -1
	v_cmpx_ne_u32_e32 0xa1, v0
	s_cbranch_execz .LBB59_14
; %bb.13:
	ds_load_b32 v3, v3 offset:652
	s_wait_dscnt 0x0
	v_cmp_ne_u32_e32 vcc_lo, v3, v1
	s_or_not1_b32 s9, vcc_lo, exec_lo
.LBB59_14:
	s_or_b32 exec_lo, exec_lo, s11
	v_mov_b32_e32 v3, s10
	s_cbranch_execnz .LBB59_27
.LBB59_15:
	v_lshlrev_b32_e32 v4, 2, v0
	s_cmp_eq_u32 s8, 1
	v_cmp_ne_u32_e32 vcc_lo, 0, v0
	s_cbranch_scc1 .LBB59_21
; %bb.16:
	s_add_co_i32 s8, s2, 0xa2
	v_mov_b64_e32 v[2:3], 1
	s_load_b32 s8, s[4:5], s8 offset:0x0 scale_offset
	s_mov_b32 s10, 0
	s_wait_loadcnt 0x0
	ds_store_b32 v4, v1
	s_wait_dscnt 0x0
	s_barrier_signal -1
	s_barrier_wait -1
	s_and_saveexec_b32 s9, vcc_lo
	s_cbranch_execz .LBB59_18
; %bb.17:
	v_dual_mov_b32 v3, s10 :: v_dual_add_nc_u32 v2, -4, v4
	ds_load_b32 v2, v2
	s_wait_dscnt 0x0
	v_cmp_ne_u32_e32 vcc_lo, v1, v2
	v_cndmask_b32_e64 v2, 0, 1, vcc_lo
.LBB59_18:
	s_or_b32 exec_lo, exec_lo, s9
	s_wait_kmcnt 0x0
	v_mov_b32_e32 v5, s8
	s_mov_b32 s8, exec_lo
	ds_store_b32 v4, v1 offset:648
	s_wait_dscnt 0x0
	s_barrier_signal -1
	s_barrier_wait -1
	v_cmpx_ne_u32_e32 0xa1, v0
; %bb.19:
	ds_load_b32 v5, v4 offset:652
; %bb.20:
	s_or_b32 exec_lo, exec_lo, s8
	s_wait_dscnt 0x0
	v_cmp_ne_u32_e64 s9, v5, v1
	s_branch .LBB59_27
.LBB59_21:
                                        ; implicit-def: $sgpr9
                                        ; implicit-def: $vgpr2_vgpr3
	s_cbranch_execz .LBB59_27
; %bb.22:
	s_add_co_i32 s8, s2, -1
	s_add_co_i32 s9, s2, 0xa2
	s_load_b32 s8, s[4:5], s8 offset:0x0 scale_offset
	s_wait_loadcnt 0x0
	ds_store_b32 v4, v1
	s_wait_xcnt 0x0
	s_load_b32 s4, s[4:5], s9 offset:0x0 scale_offset
	s_wait_xcnt 0x0
	s_mov_b32 s5, exec_lo
	s_wait_dscnt 0x0
	s_barrier_signal -1
	s_barrier_wait -1
	s_wait_kmcnt 0x0
	v_mov_b32_e32 v2, s8
	v_cmpx_ne_u32_e32 0, v0
; %bb.23:
	v_add_nc_u32_e32 v2, -4, v4
	ds_load_b32 v2, v2
; %bb.24:
	s_or_b32 exec_lo, exec_lo, s5
	v_mov_b32_e32 v5, s4
	s_mov_b32 s4, exec_lo
	ds_store_b32 v4, v1 offset:648
	s_wait_dscnt 0x0
	s_barrier_signal -1
	s_barrier_wait -1
	v_cmpx_ne_u32_e32 0xa1, v0
; %bb.25:
	ds_load_b32 v5, v4 offset:652
; %bb.26:
	s_or_b32 exec_lo, exec_lo, s4
	v_cmp_ne_u32_e32 vcc_lo, v1, v2
	s_mov_b32 s4, 0
	s_wait_dscnt 0x0
	v_cmp_ne_u32_e64 s9, v5, v1
	v_mov_b32_e32 v3, s4
	v_cndmask_b32_e64 v2, 0, 1, vcc_lo
.LBB59_27:
	s_mov_b32 s4, 0
	s_delay_alu instid0(VALU_DEP_1) | instskip(SKIP_2) | instid1(SALU_CYCLE_1)
	v_cndmask_b32_e64 v4, 0, 1, s9
	v_mov_b32_e32 v5, s4
	s_lshl_b64 s[2:3], s[2:3], 3
	s_add_nc_u64 s[4:5], s[6:7], s[2:3]
	s_add_nc_u64 s[0:1], s[0:1], s[2:3]
	s_clause 0x1
	global_store_b64 v0, v[2:3], s[4:5] scale_offset
	global_store_b64 v0, v[4:5], s[0:1] scale_offset
	s_endpgm
	.section	.rodata,"a",@progbits
	.p2align	6, 0x0
	.amdhsa_kernel _Z27flag_heads_and_tails_kernelIjxN6hipcub10InequalityELj162ELj1EEvPT_PxS4_
		.amdhsa_group_segment_fixed_size 1296
		.amdhsa_private_segment_fixed_size 0
		.amdhsa_kernarg_size 24
		.amdhsa_user_sgpr_count 2
		.amdhsa_user_sgpr_dispatch_ptr 0
		.amdhsa_user_sgpr_queue_ptr 0
		.amdhsa_user_sgpr_kernarg_segment_ptr 1
		.amdhsa_user_sgpr_dispatch_id 0
		.amdhsa_user_sgpr_kernarg_preload_length 0
		.amdhsa_user_sgpr_kernarg_preload_offset 0
		.amdhsa_user_sgpr_private_segment_size 0
		.amdhsa_wavefront_size32 1
		.amdhsa_uses_dynamic_stack 0
		.amdhsa_enable_private_segment 0
		.amdhsa_system_sgpr_workgroup_id_x 1
		.amdhsa_system_sgpr_workgroup_id_y 0
		.amdhsa_system_sgpr_workgroup_id_z 0
		.amdhsa_system_sgpr_workgroup_info 0
		.amdhsa_system_vgpr_workitem_id 0
		.amdhsa_next_free_vgpr 6
		.amdhsa_next_free_sgpr 12
		.amdhsa_named_barrier_count 0
		.amdhsa_reserve_vcc 1
		.amdhsa_float_round_mode_32 0
		.amdhsa_float_round_mode_16_64 0
		.amdhsa_float_denorm_mode_32 3
		.amdhsa_float_denorm_mode_16_64 3
		.amdhsa_fp16_overflow 0
		.amdhsa_memory_ordered 1
		.amdhsa_forward_progress 1
		.amdhsa_inst_pref_size 7
		.amdhsa_round_robin_scheduling 0
		.amdhsa_exception_fp_ieee_invalid_op 0
		.amdhsa_exception_fp_denorm_src 0
		.amdhsa_exception_fp_ieee_div_zero 0
		.amdhsa_exception_fp_ieee_overflow 0
		.amdhsa_exception_fp_ieee_underflow 0
		.amdhsa_exception_fp_ieee_inexact 0
		.amdhsa_exception_int_div_zero 0
	.end_amdhsa_kernel
	.section	.text._Z27flag_heads_and_tails_kernelIjxN6hipcub10InequalityELj162ELj1EEvPT_PxS4_,"axG",@progbits,_Z27flag_heads_and_tails_kernelIjxN6hipcub10InequalityELj162ELj1EEvPT_PxS4_,comdat
.Lfunc_end59:
	.size	_Z27flag_heads_and_tails_kernelIjxN6hipcub10InequalityELj162ELj1EEvPT_PxS4_, .Lfunc_end59-_Z27flag_heads_and_tails_kernelIjxN6hipcub10InequalityELj162ELj1EEvPT_PxS4_
                                        ; -- End function
	.set _Z27flag_heads_and_tails_kernelIjxN6hipcub10InequalityELj162ELj1EEvPT_PxS4_.num_vgpr, 6
	.set _Z27flag_heads_and_tails_kernelIjxN6hipcub10InequalityELj162ELj1EEvPT_PxS4_.num_agpr, 0
	.set _Z27flag_heads_and_tails_kernelIjxN6hipcub10InequalityELj162ELj1EEvPT_PxS4_.numbered_sgpr, 12
	.set _Z27flag_heads_and_tails_kernelIjxN6hipcub10InequalityELj162ELj1EEvPT_PxS4_.num_named_barrier, 0
	.set _Z27flag_heads_and_tails_kernelIjxN6hipcub10InequalityELj162ELj1EEvPT_PxS4_.private_seg_size, 0
	.set _Z27flag_heads_and_tails_kernelIjxN6hipcub10InequalityELj162ELj1EEvPT_PxS4_.uses_vcc, 1
	.set _Z27flag_heads_and_tails_kernelIjxN6hipcub10InequalityELj162ELj1EEvPT_PxS4_.uses_flat_scratch, 0
	.set _Z27flag_heads_and_tails_kernelIjxN6hipcub10InequalityELj162ELj1EEvPT_PxS4_.has_dyn_sized_stack, 0
	.set _Z27flag_heads_and_tails_kernelIjxN6hipcub10InequalityELj162ELj1EEvPT_PxS4_.has_recursion, 0
	.set _Z27flag_heads_and_tails_kernelIjxN6hipcub10InequalityELj162ELj1EEvPT_PxS4_.has_indirect_call, 0
	.section	.AMDGPU.csdata,"",@progbits
; Kernel info:
; codeLenInByte = 872
; TotalNumSgprs: 14
; NumVgprs: 6
; ScratchSize: 0
; MemoryBound: 0
; FloatMode: 240
; IeeeMode: 1
; LDSByteSize: 1296 bytes/workgroup (compile time only)
; SGPRBlocks: 0
; VGPRBlocks: 0
; NumSGPRsForWavesPerEU: 14
; NumVGPRsForWavesPerEU: 6
; NamedBarCnt: 0
; Occupancy: 16
; WaveLimiterHint : 0
; COMPUTE_PGM_RSRC2:SCRATCH_EN: 0
; COMPUTE_PGM_RSRC2:USER_SGPR: 2
; COMPUTE_PGM_RSRC2:TRAP_HANDLER: 0
; COMPUTE_PGM_RSRC2:TGID_X_EN: 1
; COMPUTE_PGM_RSRC2:TGID_Y_EN: 0
; COMPUTE_PGM_RSRC2:TGID_Z_EN: 0
; COMPUTE_PGM_RSRC2:TIDIG_COMP_CNT: 0
	.section	.text._Z27flag_heads_and_tails_kernelIxcN10test_utils13greater_equalELj510ELj1EEvPT_PxS4_,"axG",@progbits,_Z27flag_heads_and_tails_kernelIxcN10test_utils13greater_equalELj510ELj1EEvPT_PxS4_,comdat
	.protected	_Z27flag_heads_and_tails_kernelIxcN10test_utils13greater_equalELj510ELj1EEvPT_PxS4_ ; -- Begin function _Z27flag_heads_and_tails_kernelIxcN10test_utils13greater_equalELj510ELj1EEvPT_PxS4_
	.globl	_Z27flag_heads_and_tails_kernelIxcN10test_utils13greater_equalELj510ELj1EEvPT_PxS4_
	.p2align	8
	.type	_Z27flag_heads_and_tails_kernelIxcN10test_utils13greater_equalELj510ELj1EEvPT_PxS4_,@function
_Z27flag_heads_and_tails_kernelIxcN10test_utils13greater_equalELj510ELj1EEvPT_PxS4_: ; @_Z27flag_heads_and_tails_kernelIxcN10test_utils13greater_equalELj510ELj1EEvPT_PxS4_
; %bb.0:
	s_load_b128 s[4:7], s[0:1], 0x0
	s_bfe_u32 s2, ttmp6, 0x4000c
	s_and_b32 s3, ttmp6, 15
	s_add_co_i32 s2, s2, 1
	s_getreg_b32 s8, hwreg(HW_REG_IB_STS2, 6, 4)
	s_mul_i32 s2, ttmp9, s2
	s_mov_b32 s11, 0
	s_add_co_i32 s3, s3, s2
	s_cmp_eq_u32 s8, 0
	s_load_b64 s[8:9], s[0:1], 0x10
	s_cselect_b32 s12, ttmp9, s3
	s_delay_alu instid0(SALU_CYCLE_1) | instskip(NEXT) | instid1(SALU_CYCLE_1)
	s_mul_i32 s10, s12, 0x1fe
	s_lshl_b64 s[2:3], s[10:11], 3
	s_wait_kmcnt 0x0
	s_add_nc_u64 s[0:1], s[4:5], s[2:3]
	global_load_b64 v[2:3], v0, s[0:1] scale_offset
	s_wait_xcnt 0x0
	s_and_b32 s1, s12, 3
	s_delay_alu instid0(SALU_CYCLE_1)
	s_cmp_lt_i32 s1, 2
	s_cbranch_scc1 .LBB60_8
; %bb.1:
	s_cmp_gt_i32 s1, 2
	s_cbranch_scc0 .LBB60_9
; %bb.2:
	v_dual_mov_b32 v1, 1 :: v_dual_lshlrev_b32 v4, 3, v0
	s_mov_b32 s0, exec_lo
	s_wait_loadcnt 0x0
	ds_store_b64 v4, v[2:3]
	s_wait_dscnt 0x0
	s_barrier_signal -1
	s_barrier_wait -1
	v_cmpx_ne_u32_e32 0, v0
	s_cbranch_execz .LBB60_4
; %bb.3:
	v_add_nc_u32_e32 v1, -8, v4
	ds_load_b64 v[6:7], v1
	s_wait_dscnt 0x0
	v_cmp_ge_i64_e32 vcc_lo, v[2:3], v[6:7]
	v_cndmask_b32_e64 v1, 0, 1, vcc_lo
.LBB60_4:
	s_or_b32 exec_lo, exec_lo, s0
	s_mov_b32 s11, -1
	s_mov_b32 s0, exec_lo
	ds_store_b64 v4, v[2:3] offset:4080
	s_wait_dscnt 0x0
	s_barrier_signal -1
	s_barrier_wait -1
	v_cmpx_ne_u32_e32 0x1fd, v0
	s_cbranch_execz .LBB60_6
; %bb.5:
	ds_load_b64 v[4:5], v4 offset:4088
	s_wait_dscnt 0x0
	v_cmp_ge_i64_e32 vcc_lo, v[4:5], v[2:3]
	s_or_not1_b32 s11, vcc_lo, exec_lo
.LBB60_6:
	s_or_b32 exec_lo, exec_lo, s0
.LBB60_7:
	s_cbranch_execz .LBB60_15
	s_branch .LBB60_27
.LBB60_8:
                                        ; implicit-def: $sgpr11
                                        ; implicit-def: $vgpr1
	s_branch .LBB60_15
.LBB60_9:
                                        ; implicit-def: $sgpr11
                                        ; implicit-def: $vgpr1
	s_cbranch_execz .LBB60_7
; %bb.10:
	s_add_co_i32 s0, s10, -1
	v_lshlrev_b32_e32 v1, 3, v0
	s_load_b64 s[12:13], s[4:5], s0 offset:0x0 scale_offset
	s_mov_b32 s11, -1
	s_wait_xcnt 0x0
	s_mov_b32 s0, exec_lo
	s_wait_loadcnt 0x0
	ds_store_b64 v1, v[2:3]
	s_wait_dscnt 0x0
	s_barrier_signal -1
	s_barrier_wait -1
	s_wait_kmcnt 0x0
	v_mov_b64_e32 v[4:5], s[12:13]
	v_cmpx_ne_u32_e32 0, v0
; %bb.11:
	v_add_nc_u32_e32 v4, -8, v1
	ds_load_b64 v[4:5], v4
; %bb.12:
	s_or_b32 exec_lo, exec_lo, s0
	s_delay_alu instid0(SALU_CYCLE_1)
	s_mov_b32 s12, exec_lo
	s_wait_dscnt 0x0
	v_cmp_ge_i64_e32 vcc_lo, v[2:3], v[4:5]
	ds_store_b64 v1, v[2:3] offset:4080
	s_wait_dscnt 0x0
	s_barrier_signal -1
	s_barrier_wait -1
	v_cmpx_ne_u32_e32 0x1fd, v0
	s_cbranch_execz .LBB60_14
; %bb.13:
	ds_load_b64 v[4:5], v1 offset:4088
	s_wait_dscnt 0x0
	v_cmp_ge_i64_e64 s0, v[4:5], v[2:3]
	s_or_not1_b32 s11, s0, exec_lo
.LBB60_14:
	s_or_b32 exec_lo, exec_lo, s12
	v_cndmask_b32_e64 v1, 0, 1, vcc_lo
	s_cbranch_execnz .LBB60_27
.LBB60_15:
	v_lshlrev_b32_e32 v8, 3, v0
	s_cmp_eq_u32 s1, 1
	v_cmp_ne_u32_e32 vcc_lo, 0, v0
	s_cbranch_scc1 .LBB60_21
; %bb.16:
	s_add_co_i32 s0, s10, 0x1fe
	v_mov_b32_e32 v1, 1
	s_load_b64 s[0:1], s[4:5], s0 offset:0x0 scale_offset
	s_wait_loadcnt 0x0
	ds_store_b64 v8, v[2:3]
	s_wait_dscnt 0x0
	s_barrier_signal -1
	s_barrier_wait -1
	s_and_saveexec_b32 s11, vcc_lo
	s_cbranch_execz .LBB60_18
; %bb.17:
	v_add_nc_u32_e32 v1, -8, v8
	ds_load_b64 v[4:5], v1
	s_wait_dscnt 0x0
	v_cmp_ge_i64_e32 vcc_lo, v[2:3], v[4:5]
	v_cndmask_b32_e64 v1, 0, 1, vcc_lo
.LBB60_18:
	s_or_b32 exec_lo, exec_lo, s11
	s_wait_kmcnt 0x0
	v_mov_b64_e32 v[4:5], s[0:1]
	s_mov_b32 s0, exec_lo
	ds_store_b64 v8, v[2:3] offset:4080
	s_wait_dscnt 0x0
	s_barrier_signal -1
	s_barrier_wait -1
	v_cmpx_ne_u32_e32 0x1fd, v0
; %bb.19:
	ds_load_b64 v[4:5], v8 offset:4088
; %bb.20:
	s_or_b32 exec_lo, exec_lo, s0
	s_wait_dscnt 0x0
	v_cmp_ge_i64_e64 s11, v[4:5], v[2:3]
	s_branch .LBB60_27
.LBB60_21:
                                        ; implicit-def: $sgpr11
                                        ; implicit-def: $vgpr1
	s_cbranch_execz .LBB60_27
; %bb.22:
	s_add_co_i32 s0, s10, -1
	s_wait_loadcnt 0x0
	ds_store_b64 v8, v[2:3]
	s_load_b64 s[12:13], s[4:5], s0 offset:0x0 scale_offset
	s_wait_xcnt 0x0
	s_add_co_i32 s0, s10, 0x1fe
	s_load_b64 s[0:1], s[4:5], s0 offset:0x0 scale_offset
	s_wait_xcnt 0x0
	s_mov_b32 s4, exec_lo
	s_wait_dscnt 0x0
	s_barrier_signal -1
	s_barrier_wait -1
	s_wait_kmcnt 0x0
	v_mov_b64_e32 v[4:5], s[12:13]
	v_cmpx_ne_u32_e32 0, v0
; %bb.23:
	v_add_nc_u32_e32 v1, -8, v8
	ds_load_b64 v[4:5], v1
; %bb.24:
	s_or_b32 exec_lo, exec_lo, s4
	v_mov_b64_e32 v[6:7], s[0:1]
	s_mov_b32 s0, exec_lo
	ds_store_b64 v8, v[2:3] offset:4080
	s_wait_dscnt 0x0
	s_barrier_signal -1
	s_barrier_wait -1
	v_cmpx_ne_u32_e32 0x1fd, v0
; %bb.25:
	ds_load_b64 v[6:7], v8 offset:4088
; %bb.26:
	s_or_b32 exec_lo, exec_lo, s0
	v_cmp_ge_i64_e32 vcc_lo, v[2:3], v[4:5]
	s_wait_dscnt 0x0
	v_cmp_ge_i64_e64 s11, v[6:7], v[2:3]
	v_cndmask_b32_e64 v1, 0, 1, vcc_lo
.LBB60_27:
	s_mov_b32 s0, 0
	s_wait_loadcnt 0x0
	s_delay_alu instid0(VALU_DEP_1) | instskip(SKIP_1) | instid1(VALU_DEP_3)
	v_and_b32_e32 v2, 0xff, v1
	v_dual_mov_b32 v3, 0 :: v_dual_mov_b32 v5, s0
	v_cndmask_b32_e64 v4, 0, 1, s11
	s_add_nc_u64 s[0:1], s[6:7], s[2:3]
	s_add_nc_u64 s[2:3], s[8:9], s[2:3]
	s_clause 0x1
	global_store_b64 v0, v[2:3], s[0:1] scale_offset
	global_store_b64 v0, v[4:5], s[2:3] scale_offset
	s_endpgm
	.section	.rodata,"a",@progbits
	.p2align	6, 0x0
	.amdhsa_kernel _Z27flag_heads_and_tails_kernelIxcN10test_utils13greater_equalELj510ELj1EEvPT_PxS4_
		.amdhsa_group_segment_fixed_size 8160
		.amdhsa_private_segment_fixed_size 0
		.amdhsa_kernarg_size 24
		.amdhsa_user_sgpr_count 2
		.amdhsa_user_sgpr_dispatch_ptr 0
		.amdhsa_user_sgpr_queue_ptr 0
		.amdhsa_user_sgpr_kernarg_segment_ptr 1
		.amdhsa_user_sgpr_dispatch_id 0
		.amdhsa_user_sgpr_kernarg_preload_length 0
		.amdhsa_user_sgpr_kernarg_preload_offset 0
		.amdhsa_user_sgpr_private_segment_size 0
		.amdhsa_wavefront_size32 1
		.amdhsa_uses_dynamic_stack 0
		.amdhsa_enable_private_segment 0
		.amdhsa_system_sgpr_workgroup_id_x 1
		.amdhsa_system_sgpr_workgroup_id_y 0
		.amdhsa_system_sgpr_workgroup_id_z 0
		.amdhsa_system_sgpr_workgroup_info 0
		.amdhsa_system_vgpr_workitem_id 0
		.amdhsa_next_free_vgpr 9
		.amdhsa_next_free_sgpr 14
		.amdhsa_named_barrier_count 0
		.amdhsa_reserve_vcc 1
		.amdhsa_float_round_mode_32 0
		.amdhsa_float_round_mode_16_64 0
		.amdhsa_float_denorm_mode_32 3
		.amdhsa_float_denorm_mode_16_64 3
		.amdhsa_fp16_overflow 0
		.amdhsa_memory_ordered 1
		.amdhsa_forward_progress 1
		.amdhsa_inst_pref_size 7
		.amdhsa_round_robin_scheduling 0
		.amdhsa_exception_fp_ieee_invalid_op 0
		.amdhsa_exception_fp_denorm_src 0
		.amdhsa_exception_fp_ieee_div_zero 0
		.amdhsa_exception_fp_ieee_overflow 0
		.amdhsa_exception_fp_ieee_underflow 0
		.amdhsa_exception_fp_ieee_inexact 0
		.amdhsa_exception_int_div_zero 0
	.end_amdhsa_kernel
	.section	.text._Z27flag_heads_and_tails_kernelIxcN10test_utils13greater_equalELj510ELj1EEvPT_PxS4_,"axG",@progbits,_Z27flag_heads_and_tails_kernelIxcN10test_utils13greater_equalELj510ELj1EEvPT_PxS4_,comdat
.Lfunc_end60:
	.size	_Z27flag_heads_and_tails_kernelIxcN10test_utils13greater_equalELj510ELj1EEvPT_PxS4_, .Lfunc_end60-_Z27flag_heads_and_tails_kernelIxcN10test_utils13greater_equalELj510ELj1EEvPT_PxS4_
                                        ; -- End function
	.set _Z27flag_heads_and_tails_kernelIxcN10test_utils13greater_equalELj510ELj1EEvPT_PxS4_.num_vgpr, 9
	.set _Z27flag_heads_and_tails_kernelIxcN10test_utils13greater_equalELj510ELj1EEvPT_PxS4_.num_agpr, 0
	.set _Z27flag_heads_and_tails_kernelIxcN10test_utils13greater_equalELj510ELj1EEvPT_PxS4_.numbered_sgpr, 14
	.set _Z27flag_heads_and_tails_kernelIxcN10test_utils13greater_equalELj510ELj1EEvPT_PxS4_.num_named_barrier, 0
	.set _Z27flag_heads_and_tails_kernelIxcN10test_utils13greater_equalELj510ELj1EEvPT_PxS4_.private_seg_size, 0
	.set _Z27flag_heads_and_tails_kernelIxcN10test_utils13greater_equalELj510ELj1EEvPT_PxS4_.uses_vcc, 1
	.set _Z27flag_heads_and_tails_kernelIxcN10test_utils13greater_equalELj510ELj1EEvPT_PxS4_.uses_flat_scratch, 0
	.set _Z27flag_heads_and_tails_kernelIxcN10test_utils13greater_equalELj510ELj1EEvPT_PxS4_.has_dyn_sized_stack, 0
	.set _Z27flag_heads_and_tails_kernelIxcN10test_utils13greater_equalELj510ELj1EEvPT_PxS4_.has_recursion, 0
	.set _Z27flag_heads_and_tails_kernelIxcN10test_utils13greater_equalELj510ELj1EEvPT_PxS4_.has_indirect_call, 0
	.section	.AMDGPU.csdata,"",@progbits
; Kernel info:
; codeLenInByte = 860
; TotalNumSgprs: 16
; NumVgprs: 9
; ScratchSize: 0
; MemoryBound: 0
; FloatMode: 240
; IeeeMode: 1
; LDSByteSize: 8160 bytes/workgroup (compile time only)
; SGPRBlocks: 0
; VGPRBlocks: 0
; NumSGPRsForWavesPerEU: 16
; NumVGPRsForWavesPerEU: 9
; NamedBarCnt: 0
; Occupancy: 16
; WaveLimiterHint : 0
; COMPUTE_PGM_RSRC2:SCRATCH_EN: 0
; COMPUTE_PGM_RSRC2:USER_SGPR: 2
; COMPUTE_PGM_RSRC2:TRAP_HANDLER: 0
; COMPUTE_PGM_RSRC2:TGID_X_EN: 1
; COMPUTE_PGM_RSRC2:TGID_Y_EN: 0
; COMPUTE_PGM_RSRC2:TGID_Z_EN: 0
; COMPUTE_PGM_RSRC2:TIDIG_COMP_CNT: 0
	.section	.text._Z27flag_heads_and_tails_kernelI12hip_bfloat16iN10test_utils7greaterELj37ELj1EEvPT_PxS5_,"axG",@progbits,_Z27flag_heads_and_tails_kernelI12hip_bfloat16iN10test_utils7greaterELj37ELj1EEvPT_PxS5_,comdat
	.protected	_Z27flag_heads_and_tails_kernelI12hip_bfloat16iN10test_utils7greaterELj37ELj1EEvPT_PxS5_ ; -- Begin function _Z27flag_heads_and_tails_kernelI12hip_bfloat16iN10test_utils7greaterELj37ELj1EEvPT_PxS5_
	.globl	_Z27flag_heads_and_tails_kernelI12hip_bfloat16iN10test_utils7greaterELj37ELj1EEvPT_PxS5_
	.p2align	8
	.type	_Z27flag_heads_and_tails_kernelI12hip_bfloat16iN10test_utils7greaterELj37ELj1EEvPT_PxS5_,@function
_Z27flag_heads_and_tails_kernelI12hip_bfloat16iN10test_utils7greaterELj37ELj1EEvPT_PxS5_: ; @_Z27flag_heads_and_tails_kernelI12hip_bfloat16iN10test_utils7greaterELj37ELj1EEvPT_PxS5_
; %bb.0:
	s_load_b128 s[4:7], s[0:1], 0x0
	s_bfe_u32 s2, ttmp6, 0x4000c
	s_and_b32 s3, ttmp6, 15
	s_add_co_i32 s2, s2, 1
	s_getreg_b32 s8, hwreg(HW_REG_IB_STS2, 6, 4)
	s_mul_i32 s2, ttmp9, s2
	s_mov_b32 s9, 0
	s_add_co_i32 s3, s3, s2
	s_cmp_eq_u32 s8, 0
	s_cselect_b32 s12, ttmp9, s3
	s_load_b64 s[2:3], s[0:1], 0x10
	s_mul_i32 s8, s12, 37
	s_delay_alu instid0(SALU_CYCLE_1)
	s_lshl_b64 s[10:11], s[8:9], 1
	s_wait_kmcnt 0x0
	s_add_nc_u64 s[0:1], s[4:5], s[10:11]
	global_load_u16 v1, v0, s[0:1] scale_offset
	s_wait_xcnt 0x0
	s_and_b32 s1, s12, 3
	s_delay_alu instid0(SALU_CYCLE_1)
	s_cmp_lt_i32 s1, 2
	s_cbranch_scc1 .LBB61_8
; %bb.1:
	s_cmp_gt_i32 s1, 2
	s_cbranch_scc0 .LBB61_9
; %bb.2:
	v_dual_mov_b32 v2, 1 :: v_dual_lshlrev_b32 v3, 1, v0
	s_mov_b32 s0, exec_lo
	s_wait_loadcnt 0x0
	ds_store_b16 v3, v1
	s_wait_dscnt 0x0
	s_barrier_signal -1
	s_barrier_wait -1
	v_cmpx_ne_u32_e32 0, v0
	s_cbranch_execz .LBB61_4
; %bb.3:
	v_dual_add_nc_u32 v2, -2, v3 :: v_dual_lshlrev_b32 v4, 16, v1
	ds_load_u16 v2, v2
	s_wait_dscnt 0x0
	v_lshlrev_b32_e32 v2, 16, v2
	s_delay_alu instid0(VALU_DEP_1)
	v_cmp_lt_f32_e32 vcc_lo, v2, v4
	v_cndmask_b32_e64 v2, 0, 1, vcc_lo
.LBB61_4:
	s_or_b32 exec_lo, exec_lo, s0
	s_mov_b32 s10, -1
	s_mov_b32 s0, exec_lo
	ds_store_b16 v3, v1 offset:74
	s_wait_dscnt 0x0
	s_barrier_signal -1
	s_barrier_wait -1
	v_cmpx_ne_u32_e32 36, v0
	s_cbranch_execz .LBB61_6
; %bb.5:
	ds_load_u16 v3, v3 offset:76
	s_wait_dscnt 0x0
	v_dual_lshlrev_b32 v4, 16, v1 :: v_dual_lshlrev_b32 v3, 16, v3
	s_delay_alu instid0(VALU_DEP_1)
	v_cmp_lt_f32_e32 vcc_lo, v4, v3
	s_or_not1_b32 s10, vcc_lo, exec_lo
.LBB61_6:
	s_or_b32 exec_lo, exec_lo, s0
.LBB61_7:
	s_cbranch_execz .LBB61_15
	s_branch .LBB61_27
.LBB61_8:
                                        ; implicit-def: $sgpr10
                                        ; implicit-def: $vgpr2
	s_branch .LBB61_15
.LBB61_9:
                                        ; implicit-def: $sgpr10
                                        ; implicit-def: $vgpr2
	s_cbranch_execz .LBB61_7
; %bb.10:
	s_add_co_i32 s0, s8, -1
	s_mov_b32 s10, -1
	v_mov_b32_e32 v2, s0
	s_mov_b32 s0, exec_lo
	global_load_u16 v3, v2, s[4:5] scale_offset
	s_wait_xcnt 0x0
	v_lshlrev_b32_e32 v2, 1, v0
	s_wait_loadcnt 0x1
	ds_store_b16 v2, v1
	s_wait_loadcnt_dscnt 0x0
	s_barrier_signal -1
	s_barrier_wait -1
	v_cmpx_ne_u32_e32 0, v0
; %bb.11:
	v_add_nc_u32_e32 v3, -2, v2
	ds_load_u16 v3, v3
; %bb.12:
	s_or_b32 exec_lo, exec_lo, s0
	s_wait_dscnt 0x0
	v_dual_lshlrev_b32 v4, 16, v1 :: v_dual_lshlrev_b32 v3, 16, v3
	s_mov_b32 s11, exec_lo
	ds_store_b16 v2, v1 offset:74
	s_wait_dscnt 0x0
	s_barrier_signal -1
	v_cmp_lt_f32_e32 vcc_lo, v3, v4
	s_barrier_wait -1
	v_cmpx_ne_u32_e32 36, v0
	s_cbranch_execz .LBB61_14
; %bb.13:
	ds_load_u16 v2, v2 offset:76
	s_wait_dscnt 0x0
	v_lshlrev_b32_e32 v2, 16, v2
	s_delay_alu instid0(VALU_DEP_1)
	v_cmp_lt_f32_e64 s0, v4, v2
	s_or_not1_b32 s10, s0, exec_lo
.LBB61_14:
	s_or_b32 exec_lo, exec_lo, s11
	v_cndmask_b32_e64 v2, 0, 1, vcc_lo
	s_cbranch_execnz .LBB61_27
.LBB61_15:
	v_lshlrev_b32_e32 v3, 1, v0
	s_cmp_eq_u32 s1, 1
	v_cmp_ne_u32_e32 vcc_lo, 0, v0
	s_cbranch_scc1 .LBB61_21
; %bb.16:
	s_add_co_i32 s0, s8, 37
	s_wait_loadcnt 0x0
	ds_store_b16 v3, v1
	v_mov_b32_e32 v2, s0
	global_load_u16 v4, v2, s[4:5] scale_offset
	s_wait_xcnt 0x0
	v_mov_b32_e32 v2, 1
	s_wait_loadcnt_dscnt 0x0
	s_barrier_signal -1
	s_barrier_wait -1
	s_and_saveexec_b32 s0, vcc_lo
	s_cbranch_execz .LBB61_18
; %bb.17:
	v_dual_add_nc_u32 v2, -2, v3 :: v_dual_lshlrev_b32 v5, 16, v1
	ds_load_u16 v2, v2
	s_wait_dscnt 0x0
	v_lshlrev_b32_e32 v2, 16, v2
	s_delay_alu instid0(VALU_DEP_1)
	v_cmp_lt_f32_e32 vcc_lo, v2, v5
	v_cndmask_b32_e64 v2, 0, 1, vcc_lo
.LBB61_18:
	s_or_b32 exec_lo, exec_lo, s0
	s_delay_alu instid0(SALU_CYCLE_1)
	s_mov_b32 s0, exec_lo
	ds_store_b16 v3, v1 offset:74
	s_wait_dscnt 0x0
	s_barrier_signal -1
	s_barrier_wait -1
	v_cmpx_ne_u32_e32 36, v0
; %bb.19:
	ds_load_u16 v4, v3 offset:76
; %bb.20:
	s_or_b32 exec_lo, exec_lo, s0
	s_wait_dscnt 0x0
	v_dual_lshlrev_b32 v4, 16, v4 :: v_dual_lshlrev_b32 v5, 16, v1
	s_delay_alu instid0(VALU_DEP_1)
	v_cmp_lt_f32_e64 s10, v5, v4
	s_branch .LBB61_27
.LBB61_21:
                                        ; implicit-def: $sgpr10
                                        ; implicit-def: $vgpr2
	s_cbranch_execz .LBB61_27
; %bb.22:
	s_add_co_i32 s0, s8, -1
	s_add_co_i32 s1, s8, 37
	s_delay_alu instid0(SALU_CYCLE_1)
	v_dual_mov_b32 v5, s0 :: v_dual_mov_b32 v6, s1
	s_mov_b32 s0, exec_lo
	s_clause 0x1
	global_load_u16 v4, v5, s[4:5] scale_offset
	global_load_u16 v2, v6, s[4:5] scale_offset
	s_wait_loadcnt 0x2
	ds_store_b16 v3, v1
	s_wait_loadcnt_dscnt 0x0
	s_barrier_signal -1
	s_barrier_wait -1
	v_cmpx_ne_u32_e32 0, v0
; %bb.23:
	v_add_nc_u32_e32 v4, -2, v3
	ds_load_u16 v4, v4
; %bb.24:
	s_or_b32 exec_lo, exec_lo, s0
	s_delay_alu instid0(SALU_CYCLE_1)
	s_mov_b32 s0, exec_lo
	ds_store_b16 v3, v1 offset:74
	s_wait_dscnt 0x0
	s_barrier_signal -1
	s_barrier_wait -1
	v_cmpx_ne_u32_e32 36, v0
; %bb.25:
	ds_load_u16 v2, v3 offset:76
; %bb.26:
	s_or_b32 exec_lo, exec_lo, s0
	v_dual_lshlrev_b32 v1, 16, v1 :: v_dual_lshlrev_b32 v3, 16, v4
	s_wait_dscnt 0x0
	v_lshlrev_b32_e32 v4, 16, v2
	s_delay_alu instid0(VALU_DEP_2) | instskip(NEXT) | instid1(VALU_DEP_2)
	v_cmp_lt_f32_e32 vcc_lo, v3, v1
	v_cmp_lt_f32_e64 s10, v1, v4
	v_cndmask_b32_e64 v2, 0, 1, vcc_lo
.LBB61_27:
	s_mov_b32 s4, 0
	s_delay_alu instid0(SALU_CYCLE_1)
	v_dual_mov_b32 v3, 0 :: v_dual_mov_b32 v5, s4
	s_lshl_b64 s[0:1], s[8:9], 3
	v_cndmask_b32_e64 v4, 0, 1, s10
	s_add_nc_u64 s[4:5], s[6:7], s[0:1]
	s_add_nc_u64 s[0:1], s[2:3], s[0:1]
	s_clause 0x1
	global_store_b64 v0, v[2:3], s[4:5] scale_offset
	global_store_b64 v0, v[4:5], s[0:1] scale_offset
	s_endpgm
	.section	.rodata,"a",@progbits
	.p2align	6, 0x0
	.amdhsa_kernel _Z27flag_heads_and_tails_kernelI12hip_bfloat16iN10test_utils7greaterELj37ELj1EEvPT_PxS5_
		.amdhsa_group_segment_fixed_size 148
		.amdhsa_private_segment_fixed_size 0
		.amdhsa_kernarg_size 24
		.amdhsa_user_sgpr_count 2
		.amdhsa_user_sgpr_dispatch_ptr 0
		.amdhsa_user_sgpr_queue_ptr 0
		.amdhsa_user_sgpr_kernarg_segment_ptr 1
		.amdhsa_user_sgpr_dispatch_id 0
		.amdhsa_user_sgpr_kernarg_preload_length 0
		.amdhsa_user_sgpr_kernarg_preload_offset 0
		.amdhsa_user_sgpr_private_segment_size 0
		.amdhsa_wavefront_size32 1
		.amdhsa_uses_dynamic_stack 0
		.amdhsa_enable_private_segment 0
		.amdhsa_system_sgpr_workgroup_id_x 1
		.amdhsa_system_sgpr_workgroup_id_y 0
		.amdhsa_system_sgpr_workgroup_id_z 0
		.amdhsa_system_sgpr_workgroup_info 0
		.amdhsa_system_vgpr_workitem_id 0
		.amdhsa_next_free_vgpr 7
		.amdhsa_next_free_sgpr 13
		.amdhsa_named_barrier_count 0
		.amdhsa_reserve_vcc 1
		.amdhsa_float_round_mode_32 0
		.amdhsa_float_round_mode_16_64 0
		.amdhsa_float_denorm_mode_32 3
		.amdhsa_float_denorm_mode_16_64 3
		.amdhsa_fp16_overflow 0
		.amdhsa_memory_ordered 1
		.amdhsa_forward_progress 1
		.amdhsa_inst_pref_size 8
		.amdhsa_round_robin_scheduling 0
		.amdhsa_exception_fp_ieee_invalid_op 0
		.amdhsa_exception_fp_denorm_src 0
		.amdhsa_exception_fp_ieee_div_zero 0
		.amdhsa_exception_fp_ieee_overflow 0
		.amdhsa_exception_fp_ieee_underflow 0
		.amdhsa_exception_fp_ieee_inexact 0
		.amdhsa_exception_int_div_zero 0
	.end_amdhsa_kernel
	.section	.text._Z27flag_heads_and_tails_kernelI12hip_bfloat16iN10test_utils7greaterELj37ELj1EEvPT_PxS5_,"axG",@progbits,_Z27flag_heads_and_tails_kernelI12hip_bfloat16iN10test_utils7greaterELj37ELj1EEvPT_PxS5_,comdat
.Lfunc_end61:
	.size	_Z27flag_heads_and_tails_kernelI12hip_bfloat16iN10test_utils7greaterELj37ELj1EEvPT_PxS5_, .Lfunc_end61-_Z27flag_heads_and_tails_kernelI12hip_bfloat16iN10test_utils7greaterELj37ELj1EEvPT_PxS5_
                                        ; -- End function
	.set _Z27flag_heads_and_tails_kernelI12hip_bfloat16iN10test_utils7greaterELj37ELj1EEvPT_PxS5_.num_vgpr, 7
	.set _Z27flag_heads_and_tails_kernelI12hip_bfloat16iN10test_utils7greaterELj37ELj1EEvPT_PxS5_.num_agpr, 0
	.set _Z27flag_heads_and_tails_kernelI12hip_bfloat16iN10test_utils7greaterELj37ELj1EEvPT_PxS5_.numbered_sgpr, 13
	.set _Z27flag_heads_and_tails_kernelI12hip_bfloat16iN10test_utils7greaterELj37ELj1EEvPT_PxS5_.num_named_barrier, 0
	.set _Z27flag_heads_and_tails_kernelI12hip_bfloat16iN10test_utils7greaterELj37ELj1EEvPT_PxS5_.private_seg_size, 0
	.set _Z27flag_heads_and_tails_kernelI12hip_bfloat16iN10test_utils7greaterELj37ELj1EEvPT_PxS5_.uses_vcc, 1
	.set _Z27flag_heads_and_tails_kernelI12hip_bfloat16iN10test_utils7greaterELj37ELj1EEvPT_PxS5_.uses_flat_scratch, 0
	.set _Z27flag_heads_and_tails_kernelI12hip_bfloat16iN10test_utils7greaterELj37ELj1EEvPT_PxS5_.has_dyn_sized_stack, 0
	.set _Z27flag_heads_and_tails_kernelI12hip_bfloat16iN10test_utils7greaterELj37ELj1EEvPT_PxS5_.has_recursion, 0
	.set _Z27flag_heads_and_tails_kernelI12hip_bfloat16iN10test_utils7greaterELj37ELj1EEvPT_PxS5_.has_indirect_call, 0
	.section	.AMDGPU.csdata,"",@progbits
; Kernel info:
; codeLenInByte = 940
; TotalNumSgprs: 15
; NumVgprs: 7
; ScratchSize: 0
; MemoryBound: 0
; FloatMode: 240
; IeeeMode: 1
; LDSByteSize: 148 bytes/workgroup (compile time only)
; SGPRBlocks: 0
; VGPRBlocks: 0
; NumSGPRsForWavesPerEU: 15
; NumVGPRsForWavesPerEU: 7
; NamedBarCnt: 0
; Occupancy: 16
; WaveLimiterHint : 0
; COMPUTE_PGM_RSRC2:SCRATCH_EN: 0
; COMPUTE_PGM_RSRC2:USER_SGPR: 2
; COMPUTE_PGM_RSRC2:TRAP_HANDLER: 0
; COMPUTE_PGM_RSRC2:TGID_X_EN: 1
; COMPUTE_PGM_RSRC2:TGID_Y_EN: 0
; COMPUTE_PGM_RSRC2:TGID_Z_EN: 0
; COMPUTE_PGM_RSRC2:TIDIG_COMP_CNT: 0
	.section	.text._Z27flag_heads_and_tails_kernelI6__halfiN10test_utils7greaterELj37ELj1EEvPT_PxS5_,"axG",@progbits,_Z27flag_heads_and_tails_kernelI6__halfiN10test_utils7greaterELj37ELj1EEvPT_PxS5_,comdat
	.protected	_Z27flag_heads_and_tails_kernelI6__halfiN10test_utils7greaterELj37ELj1EEvPT_PxS5_ ; -- Begin function _Z27flag_heads_and_tails_kernelI6__halfiN10test_utils7greaterELj37ELj1EEvPT_PxS5_
	.globl	_Z27flag_heads_and_tails_kernelI6__halfiN10test_utils7greaterELj37ELj1EEvPT_PxS5_
	.p2align	8
	.type	_Z27flag_heads_and_tails_kernelI6__halfiN10test_utils7greaterELj37ELj1EEvPT_PxS5_,@function
_Z27flag_heads_and_tails_kernelI6__halfiN10test_utils7greaterELj37ELj1EEvPT_PxS5_: ; @_Z27flag_heads_and_tails_kernelI6__halfiN10test_utils7greaterELj37ELj1EEvPT_PxS5_
; %bb.0:
	s_load_b128 s[4:7], s[0:1], 0x0
	s_bfe_u32 s2, ttmp6, 0x4000c
	s_and_b32 s3, ttmp6, 15
	s_add_co_i32 s2, s2, 1
	s_getreg_b32 s8, hwreg(HW_REG_IB_STS2, 6, 4)
	s_mul_i32 s2, ttmp9, s2
	s_mov_b32 s9, 0
	s_add_co_i32 s3, s3, s2
	s_cmp_eq_u32 s8, 0
	s_cselect_b32 s12, ttmp9, s3
	s_load_b64 s[2:3], s[0:1], 0x10
	s_mul_i32 s8, s12, 37
	s_delay_alu instid0(SALU_CYCLE_1)
	s_lshl_b64 s[10:11], s[8:9], 1
	s_wait_kmcnt 0x0
	s_add_nc_u64 s[0:1], s[4:5], s[10:11]
	global_load_u16 v1, v0, s[0:1] scale_offset
	s_wait_xcnt 0x0
	s_and_b32 s1, s12, 3
	s_delay_alu instid0(SALU_CYCLE_1)
	s_cmp_lt_i32 s1, 2
	s_cbranch_scc1 .LBB62_8
; %bb.1:
	s_cmp_gt_i32 s1, 2
	s_cbranch_scc0 .LBB62_9
; %bb.2:
	v_dual_mov_b32 v2, 1 :: v_dual_lshlrev_b32 v3, 1, v0
	s_mov_b32 s0, exec_lo
	s_wait_loadcnt 0x0
	ds_store_b16 v3, v1
	s_wait_dscnt 0x0
	s_barrier_signal -1
	s_barrier_wait -1
	v_cmpx_ne_u32_e32 0, v0
	s_cbranch_execz .LBB62_4
; %bb.3:
	v_add_nc_u32_e32 v2, -2, v3
	ds_load_u16 v2, v2
	s_wait_dscnt 0x0
	v_cmp_lt_f16_e32 vcc_lo, v2, v1
	v_cndmask_b32_e64 v2, 0, 1, vcc_lo
.LBB62_4:
	s_or_b32 exec_lo, exec_lo, s0
	s_mov_b32 s10, -1
	s_mov_b32 s0, exec_lo
	ds_store_b16 v3, v1 offset:74
	s_wait_dscnt 0x0
	s_barrier_signal -1
	s_barrier_wait -1
	v_cmpx_ne_u32_e32 36, v0
	s_cbranch_execz .LBB62_6
; %bb.5:
	ds_load_u16 v3, v3 offset:76
	s_wait_dscnt 0x0
	v_cmp_gt_f16_e32 vcc_lo, v3, v1
	s_or_not1_b32 s10, vcc_lo, exec_lo
.LBB62_6:
	s_or_b32 exec_lo, exec_lo, s0
.LBB62_7:
	s_cbranch_execz .LBB62_15
	s_branch .LBB62_27
.LBB62_8:
                                        ; implicit-def: $sgpr10
                                        ; implicit-def: $vgpr2
	s_branch .LBB62_15
.LBB62_9:
                                        ; implicit-def: $sgpr10
                                        ; implicit-def: $vgpr2
	s_cbranch_execz .LBB62_7
; %bb.10:
	s_add_co_i32 s0, s8, -1
	s_mov_b32 s10, -1
	v_mov_b32_e32 v2, s0
	s_mov_b32 s0, exec_lo
	global_load_u16 v3, v2, s[4:5] scale_offset
	s_wait_xcnt 0x0
	v_lshlrev_b32_e32 v2, 1, v0
	s_wait_loadcnt 0x1
	ds_store_b16 v2, v1
	s_wait_loadcnt_dscnt 0x0
	s_barrier_signal -1
	s_barrier_wait -1
	v_cmpx_ne_u32_e32 0, v0
; %bb.11:
	v_add_nc_u32_e32 v3, -2, v2
	ds_load_u16 v3, v3
; %bb.12:
	s_or_b32 exec_lo, exec_lo, s0
	s_delay_alu instid0(SALU_CYCLE_1)
	s_mov_b32 s11, exec_lo
	s_wait_dscnt 0x0
	v_cmp_lt_f16_e32 vcc_lo, v3, v1
	ds_store_b16 v2, v1 offset:74
	s_wait_dscnt 0x0
	s_barrier_signal -1
	s_barrier_wait -1
	v_cmpx_ne_u32_e32 36, v0
	s_cbranch_execz .LBB62_14
; %bb.13:
	ds_load_u16 v2, v2 offset:76
	s_wait_dscnt 0x0
	v_cmp_gt_f16_e64 s0, v2, v1
	s_or_not1_b32 s10, s0, exec_lo
.LBB62_14:
	s_or_b32 exec_lo, exec_lo, s11
	v_cndmask_b32_e64 v2, 0, 1, vcc_lo
	s_cbranch_execnz .LBB62_27
.LBB62_15:
	v_lshlrev_b32_e32 v3, 1, v0
	s_cmp_eq_u32 s1, 1
	v_cmp_ne_u32_e32 vcc_lo, 0, v0
	s_cbranch_scc1 .LBB62_21
; %bb.16:
	s_add_co_i32 s0, s8, 37
	s_wait_loadcnt 0x0
	ds_store_b16 v3, v1
	v_mov_b32_e32 v2, s0
	global_load_u16 v4, v2, s[4:5] scale_offset
	s_wait_xcnt 0x0
	v_mov_b32_e32 v2, 1
	s_wait_loadcnt_dscnt 0x0
	s_barrier_signal -1
	s_barrier_wait -1
	s_and_saveexec_b32 s0, vcc_lo
	s_cbranch_execz .LBB62_18
; %bb.17:
	v_add_nc_u32_e32 v2, -2, v3
	ds_load_u16 v2, v2
	s_wait_dscnt 0x0
	v_cmp_lt_f16_e32 vcc_lo, v2, v1
	v_cndmask_b32_e64 v2, 0, 1, vcc_lo
.LBB62_18:
	s_or_b32 exec_lo, exec_lo, s0
	s_delay_alu instid0(SALU_CYCLE_1)
	s_mov_b32 s0, exec_lo
	ds_store_b16 v3, v1 offset:74
	s_wait_dscnt 0x0
	s_barrier_signal -1
	s_barrier_wait -1
	v_cmpx_ne_u32_e32 36, v0
; %bb.19:
	ds_load_u16 v4, v3 offset:76
; %bb.20:
	s_or_b32 exec_lo, exec_lo, s0
	s_wait_dscnt 0x0
	v_cmp_gt_f16_e64 s10, v4, v1
	s_branch .LBB62_27
.LBB62_21:
                                        ; implicit-def: $sgpr10
                                        ; implicit-def: $vgpr2
	s_cbranch_execz .LBB62_27
; %bb.22:
	s_add_co_i32 s0, s8, -1
	s_add_co_i32 s1, s8, 37
	s_delay_alu instid0(SALU_CYCLE_1)
	v_dual_mov_b32 v5, s0 :: v_dual_mov_b32 v6, s1
	s_mov_b32 s0, exec_lo
	s_clause 0x1
	global_load_u16 v2, v5, s[4:5] scale_offset
	global_load_u16 v4, v6, s[4:5] scale_offset
	s_wait_loadcnt 0x2
	ds_store_b16 v3, v1
	s_wait_loadcnt_dscnt 0x0
	s_barrier_signal -1
	s_barrier_wait -1
	v_cmpx_ne_u32_e32 0, v0
; %bb.23:
	v_add_nc_u32_e32 v2, -2, v3
	ds_load_u16 v2, v2
; %bb.24:
	s_or_b32 exec_lo, exec_lo, s0
	s_delay_alu instid0(SALU_CYCLE_1)
	s_mov_b32 s0, exec_lo
	ds_store_b16 v3, v1 offset:74
	s_wait_dscnt 0x0
	s_barrier_signal -1
	s_barrier_wait -1
	v_cmpx_ne_u32_e32 36, v0
; %bb.25:
	ds_load_u16 v4, v3 offset:76
; %bb.26:
	s_or_b32 exec_lo, exec_lo, s0
	v_cmp_lt_f16_e32 vcc_lo, v2, v1
	s_wait_dscnt 0x0
	v_cmp_gt_f16_e64 s10, v4, v1
	v_cndmask_b32_e64 v2, 0, 1, vcc_lo
.LBB62_27:
	s_mov_b32 s4, 0
	s_delay_alu instid0(SALU_CYCLE_1)
	v_dual_mov_b32 v3, 0 :: v_dual_mov_b32 v5, s4
	s_lshl_b64 s[0:1], s[8:9], 3
	v_cndmask_b32_e64 v4, 0, 1, s10
	s_add_nc_u64 s[4:5], s[6:7], s[0:1]
	s_add_nc_u64 s[0:1], s[2:3], s[0:1]
	s_clause 0x1
	global_store_b64 v0, v[2:3], s[4:5] scale_offset
	global_store_b64 v0, v[4:5], s[0:1] scale_offset
	s_endpgm
	.section	.rodata,"a",@progbits
	.p2align	6, 0x0
	.amdhsa_kernel _Z27flag_heads_and_tails_kernelI6__halfiN10test_utils7greaterELj37ELj1EEvPT_PxS5_
		.amdhsa_group_segment_fixed_size 148
		.amdhsa_private_segment_fixed_size 0
		.amdhsa_kernarg_size 24
		.amdhsa_user_sgpr_count 2
		.amdhsa_user_sgpr_dispatch_ptr 0
		.amdhsa_user_sgpr_queue_ptr 0
		.amdhsa_user_sgpr_kernarg_segment_ptr 1
		.amdhsa_user_sgpr_dispatch_id 0
		.amdhsa_user_sgpr_kernarg_preload_length 0
		.amdhsa_user_sgpr_kernarg_preload_offset 0
		.amdhsa_user_sgpr_private_segment_size 0
		.amdhsa_wavefront_size32 1
		.amdhsa_uses_dynamic_stack 0
		.amdhsa_enable_private_segment 0
		.amdhsa_system_sgpr_workgroup_id_x 1
		.amdhsa_system_sgpr_workgroup_id_y 0
		.amdhsa_system_sgpr_workgroup_id_z 0
		.amdhsa_system_sgpr_workgroup_info 0
		.amdhsa_system_vgpr_workitem_id 0
		.amdhsa_next_free_vgpr 7
		.amdhsa_next_free_sgpr 13
		.amdhsa_named_barrier_count 0
		.amdhsa_reserve_vcc 1
		.amdhsa_float_round_mode_32 0
		.amdhsa_float_round_mode_16_64 0
		.amdhsa_float_denorm_mode_32 3
		.amdhsa_float_denorm_mode_16_64 3
		.amdhsa_fp16_overflow 0
		.amdhsa_memory_ordered 1
		.amdhsa_forward_progress 1
		.amdhsa_inst_pref_size 7
		.amdhsa_round_robin_scheduling 0
		.amdhsa_exception_fp_ieee_invalid_op 0
		.amdhsa_exception_fp_denorm_src 0
		.amdhsa_exception_fp_ieee_div_zero 0
		.amdhsa_exception_fp_ieee_overflow 0
		.amdhsa_exception_fp_ieee_underflow 0
		.amdhsa_exception_fp_ieee_inexact 0
		.amdhsa_exception_int_div_zero 0
	.end_amdhsa_kernel
	.section	.text._Z27flag_heads_and_tails_kernelI6__halfiN10test_utils7greaterELj37ELj1EEvPT_PxS5_,"axG",@progbits,_Z27flag_heads_and_tails_kernelI6__halfiN10test_utils7greaterELj37ELj1EEvPT_PxS5_,comdat
.Lfunc_end62:
	.size	_Z27flag_heads_and_tails_kernelI6__halfiN10test_utils7greaterELj37ELj1EEvPT_PxS5_, .Lfunc_end62-_Z27flag_heads_and_tails_kernelI6__halfiN10test_utils7greaterELj37ELj1EEvPT_PxS5_
                                        ; -- End function
	.set _Z27flag_heads_and_tails_kernelI6__halfiN10test_utils7greaterELj37ELj1EEvPT_PxS5_.num_vgpr, 7
	.set _Z27flag_heads_and_tails_kernelI6__halfiN10test_utils7greaterELj37ELj1EEvPT_PxS5_.num_agpr, 0
	.set _Z27flag_heads_and_tails_kernelI6__halfiN10test_utils7greaterELj37ELj1EEvPT_PxS5_.numbered_sgpr, 13
	.set _Z27flag_heads_and_tails_kernelI6__halfiN10test_utils7greaterELj37ELj1EEvPT_PxS5_.num_named_barrier, 0
	.set _Z27flag_heads_and_tails_kernelI6__halfiN10test_utils7greaterELj37ELj1EEvPT_PxS5_.private_seg_size, 0
	.set _Z27flag_heads_and_tails_kernelI6__halfiN10test_utils7greaterELj37ELj1EEvPT_PxS5_.uses_vcc, 1
	.set _Z27flag_heads_and_tails_kernelI6__halfiN10test_utils7greaterELj37ELj1EEvPT_PxS5_.uses_flat_scratch, 0
	.set _Z27flag_heads_and_tails_kernelI6__halfiN10test_utils7greaterELj37ELj1EEvPT_PxS5_.has_dyn_sized_stack, 0
	.set _Z27flag_heads_and_tails_kernelI6__halfiN10test_utils7greaterELj37ELj1EEvPT_PxS5_.has_recursion, 0
	.set _Z27flag_heads_and_tails_kernelI6__halfiN10test_utils7greaterELj37ELj1EEvPT_PxS5_.has_indirect_call, 0
	.section	.AMDGPU.csdata,"",@progbits
; Kernel info:
; codeLenInByte = 840
; TotalNumSgprs: 15
; NumVgprs: 7
; ScratchSize: 0
; MemoryBound: 0
; FloatMode: 240
; IeeeMode: 1
; LDSByteSize: 148 bytes/workgroup (compile time only)
; SGPRBlocks: 0
; VGPRBlocks: 0
; NumSGPRsForWavesPerEU: 15
; NumVGPRsForWavesPerEU: 7
; NamedBarCnt: 0
; Occupancy: 16
; WaveLimiterHint : 0
; COMPUTE_PGM_RSRC2:SCRATCH_EN: 0
; COMPUTE_PGM_RSRC2:USER_SGPR: 2
; COMPUTE_PGM_RSRC2:TRAP_HANDLER: 0
; COMPUTE_PGM_RSRC2:TGID_X_EN: 1
; COMPUTE_PGM_RSRC2:TGID_Y_EN: 0
; COMPUTE_PGM_RSRC2:TGID_Z_EN: 0
; COMPUTE_PGM_RSRC2:TIDIG_COMP_CNT: 0
	.section	.text._Z27flag_heads_and_tails_kernelIfi15custom_flag_op1IfELj37ELj1EEvPT_PxS4_,"axG",@progbits,_Z27flag_heads_and_tails_kernelIfi15custom_flag_op1IfELj37ELj1EEvPT_PxS4_,comdat
	.protected	_Z27flag_heads_and_tails_kernelIfi15custom_flag_op1IfELj37ELj1EEvPT_PxS4_ ; -- Begin function _Z27flag_heads_and_tails_kernelIfi15custom_flag_op1IfELj37ELj1EEvPT_PxS4_
	.globl	_Z27flag_heads_and_tails_kernelIfi15custom_flag_op1IfELj37ELj1EEvPT_PxS4_
	.p2align	8
	.type	_Z27flag_heads_and_tails_kernelIfi15custom_flag_op1IfELj37ELj1EEvPT_PxS4_,@function
_Z27flag_heads_and_tails_kernelIfi15custom_flag_op1IfELj37ELj1EEvPT_PxS4_: ; @_Z27flag_heads_and_tails_kernelIfi15custom_flag_op1IfELj37ELj1EEvPT_PxS4_
; %bb.0:
	s_load_b128 s[4:7], s[0:1], 0x0
	s_bfe_u32 s2, ttmp6, 0x4000c
	s_and_b32 s3, ttmp6, 15
	s_add_co_i32 s2, s2, 1
	s_getreg_b32 s8, hwreg(HW_REG_IB_STS2, 6, 4)
	s_mul_i32 s2, ttmp9, s2
	s_wait_xcnt 0x0
	s_load_b64 s[0:1], s[0:1], 0x10
	s_add_co_i32 s3, s3, s2
	s_cmp_eq_u32 s8, 0
	s_cselect_b32 s10, ttmp9, s3
	s_mov_b32 s3, 0
	s_mul_i32 s2, s10, 37
	s_delay_alu instid0(SALU_CYCLE_1)
	s_lshl_b64 s[8:9], s[2:3], 2
	s_wait_kmcnt 0x0
	s_add_nc_u64 s[8:9], s[4:5], s[8:9]
	global_load_b32 v1, v0, s[8:9] scale_offset
	s_wait_xcnt 0x0
	s_and_b32 s8, s10, 3
	s_delay_alu instid0(SALU_CYCLE_1)
	s_cmp_lt_i32 s8, 2
	s_cbranch_scc1 .LBB63_12
; %bb.1:
	s_cmp_gt_i32 s8, 2
	s_cbranch_scc0 .LBB63_13
; %bb.2:
	v_dual_mov_b32 v2, 1 :: v_dual_lshlrev_b32 v3, 2, v0
	s_mov_b32 s9, exec_lo
	s_wait_loadcnt 0x0
	ds_store_b32 v3, v1
	s_wait_dscnt 0x0
	s_barrier_signal -1
	s_barrier_wait -1
	v_cmpx_ne_u32_e32 0, v0
	s_cbranch_execz .LBB63_6
; %bb.3:
	v_add_nc_u32_e32 v2, -4, v3
	ds_load_b32 v2, v2
	s_wait_dscnt 0x0
	v_cmp_neq_f32_e32 vcc_lo, v1, v2
	v_mov_b32_e32 v2, 1
	s_and_saveexec_b32 s10, vcc_lo
; %bb.4:
	v_mul_lo_u16 v2, 0xcccd, v0
	s_delay_alu instid0(VALU_DEP_1) | instskip(SKIP_1) | instid1(VALU_DEP_1)
	v_lshlrev_b16 v4, 15, v2
	v_lshrrev_b16 v2, 1, v2
	v_or_b32_e32 v2, v2, v4
	s_delay_alu instid0(VALU_DEP_1)
	v_cmp_gt_u16_e32 vcc_lo, 0x199a, v2
	v_cndmask_b32_e64 v2, 0, 1, vcc_lo
; %bb.5:
	s_or_b32 exec_lo, exec_lo, s10
.LBB63_6:
	s_delay_alu instid0(SALU_CYCLE_1)
	s_or_b32 exec_lo, exec_lo, s9
	s_mov_b32 s9, -1
	s_mov_b32 s10, exec_lo
	ds_store_b32 v3, v1 offset:148
	s_wait_dscnt 0x0
	s_barrier_signal -1
	s_barrier_wait -1
	v_cmpx_ne_u32_e32 36, v0
	s_cbranch_execz .LBB63_10
; %bb.7:
	ds_load_b32 v3, v3 offset:152
	s_mov_b32 s11, -1
	s_mov_b32 s9, exec_lo
	s_wait_dscnt 0x0
	v_cmpx_neq_f32_e32 v3, v1
; %bb.8:
	v_mad_u16 v3, 0xcccd, v0, 0xcccd
	s_delay_alu instid0(VALU_DEP_1) | instskip(SKIP_1) | instid1(VALU_DEP_1)
	v_lshlrev_b16 v4, 15, v3
	v_lshrrev_b16 v3, 1, v3
	v_or_b32_e32 v3, v3, v4
	s_delay_alu instid0(VALU_DEP_1)
	v_cmp_gt_u16_e32 vcc_lo, 0x199a, v3
	s_or_not1_b32 s11, vcc_lo, exec_lo
; %bb.9:
	s_or_b32 exec_lo, exec_lo, s9
	s_delay_alu instid0(SALU_CYCLE_1)
	s_or_not1_b32 s9, s11, exec_lo
.LBB63_10:
	s_or_b32 exec_lo, exec_lo, s10
.LBB63_11:
	s_cbranch_execz .LBB63_23
	s_branch .LBB63_43
.LBB63_12:
                                        ; implicit-def: $sgpr9
                                        ; implicit-def: $vgpr2
	s_branch .LBB63_23
.LBB63_13:
                                        ; implicit-def: $sgpr9
                                        ; implicit-def: $vgpr2
	s_cbranch_execz .LBB63_11
; %bb.14:
	s_add_co_i32 s9, s2, -1
	s_load_b32 s9, s[4:5], s9 offset:0x0 scale_offset
	s_wait_kmcnt 0x0
	v_dual_mov_b32 v2, s9 :: v_dual_lshlrev_b32 v3, 2, v0
	s_mov_b32 s9, exec_lo
	s_wait_loadcnt 0x0
	ds_store_b32 v3, v1
	s_wait_dscnt 0x0
	s_barrier_signal -1
	s_barrier_wait -1
	v_cmpx_ne_u32_e32 0, v0
; %bb.15:
	v_add_nc_u32_e32 v2, -4, v3
	ds_load_b32 v2, v2
; %bb.16:
	s_or_b32 exec_lo, exec_lo, s9
	s_wait_dscnt 0x0
	v_cmp_neq_f32_e32 vcc_lo, v1, v2
	v_mov_b32_e32 v2, 1
	s_and_saveexec_b32 s9, vcc_lo
; %bb.17:
	v_mul_lo_u16 v2, 0xcccd, v0
	s_delay_alu instid0(VALU_DEP_1) | instskip(SKIP_1) | instid1(VALU_DEP_1)
	v_lshlrev_b16 v4, 15, v2
	v_lshrrev_b16 v2, 1, v2
	v_or_b32_e32 v2, v2, v4
	s_delay_alu instid0(VALU_DEP_1)
	v_cmp_gt_u16_e32 vcc_lo, 0x199a, v2
	v_cndmask_b32_e64 v2, 0, 1, vcc_lo
; %bb.18:
	s_or_b32 exec_lo, exec_lo, s9
	s_mov_b32 s9, -1
	s_mov_b32 s10, exec_lo
	ds_store_b32 v3, v1 offset:148
	s_wait_dscnt 0x0
	s_barrier_signal -1
	s_barrier_wait -1
	v_cmpx_ne_u32_e32 36, v0
	s_cbranch_execz .LBB63_22
; %bb.19:
	ds_load_b32 v3, v3 offset:152
	s_mov_b32 s11, -1
	s_mov_b32 s9, exec_lo
	s_wait_dscnt 0x0
	v_cmpx_neq_f32_e32 v3, v1
; %bb.20:
	v_mad_u16 v3, 0xcccd, v0, 0xcccd
	s_delay_alu instid0(VALU_DEP_1) | instskip(SKIP_1) | instid1(VALU_DEP_1)
	v_lshlrev_b16 v4, 15, v3
	v_lshrrev_b16 v3, 1, v3
	v_or_b32_e32 v3, v3, v4
	s_delay_alu instid0(VALU_DEP_1)
	v_cmp_gt_u16_e32 vcc_lo, 0x199a, v3
	s_or_not1_b32 s11, vcc_lo, exec_lo
; %bb.21:
	s_or_b32 exec_lo, exec_lo, s9
	s_delay_alu instid0(SALU_CYCLE_1)
	s_or_not1_b32 s9, s11, exec_lo
.LBB63_22:
	s_or_b32 exec_lo, exec_lo, s10
	s_cbranch_execnz .LBB63_43
.LBB63_23:
	v_lshlrev_b32_e32 v3, 2, v0
	s_cmp_eq_u32 s8, 1
	v_cmp_ne_u32_e32 vcc_lo, 0, v0
	s_cbranch_scc1 .LBB63_33
; %bb.24:
	s_add_co_i32 s8, s2, 37
	v_mov_b32_e32 v2, 1
	s_load_b32 s8, s[4:5], s8 offset:0x0 scale_offset
	s_wait_loadcnt 0x0
	ds_store_b32 v3, v1
	s_wait_dscnt 0x0
	s_barrier_signal -1
	s_barrier_wait -1
	s_and_saveexec_b32 s9, vcc_lo
	s_cbranch_execz .LBB63_28
; %bb.25:
	v_add_nc_u32_e32 v2, -4, v3
	ds_load_b32 v2, v2
	s_wait_dscnt 0x0
	v_cmp_neq_f32_e32 vcc_lo, v1, v2
	v_mov_b32_e32 v2, 1
	s_and_saveexec_b32 s10, vcc_lo
; %bb.26:
	v_mul_lo_u16 v2, 0xcccd, v0
	s_delay_alu instid0(VALU_DEP_1) | instskip(SKIP_1) | instid1(VALU_DEP_1)
	v_lshlrev_b16 v4, 15, v2
	v_lshrrev_b16 v2, 1, v2
	v_or_b32_e32 v2, v2, v4
	s_delay_alu instid0(VALU_DEP_1)
	v_cmp_gt_u16_e32 vcc_lo, 0x199a, v2
	v_cndmask_b32_e64 v2, 0, 1, vcc_lo
; %bb.27:
	s_or_b32 exec_lo, exec_lo, s10
.LBB63_28:
	s_delay_alu instid0(SALU_CYCLE_1)
	s_or_b32 exec_lo, exec_lo, s9
	s_wait_kmcnt 0x0
	v_mov_b32_e32 v4, s8
	s_mov_b32 s8, exec_lo
	ds_store_b32 v3, v1 offset:148
	s_wait_dscnt 0x0
	s_barrier_signal -1
	s_barrier_wait -1
	v_cmpx_ne_u32_e32 36, v0
; %bb.29:
	ds_load_b32 v4, v3 offset:152
; %bb.30:
	s_or_b32 exec_lo, exec_lo, s8
	s_mov_b32 s9, -1
	s_mov_b32 s8, exec_lo
	s_wait_dscnt 0x0
	v_cmpx_neq_f32_e32 v4, v1
; %bb.31:
	v_mad_u16 v4, 0xcccd, v0, 0xcccd
	s_delay_alu instid0(VALU_DEP_1) | instskip(SKIP_1) | instid1(VALU_DEP_1)
	v_lshlrev_b16 v5, 15, v4
	v_lshrrev_b16 v4, 1, v4
	v_or_b32_e32 v4, v4, v5
	s_delay_alu instid0(VALU_DEP_1)
	v_cmp_gt_u16_e32 vcc_lo, 0x199a, v4
	s_or_not1_b32 s9, vcc_lo, exec_lo
; %bb.32:
	s_or_b32 exec_lo, exec_lo, s8
	s_branch .LBB63_43
.LBB63_33:
                                        ; implicit-def: $sgpr9
                                        ; implicit-def: $vgpr2
	s_cbranch_execz .LBB63_43
; %bb.34:
	s_add_co_i32 s8, s2, -1
	s_add_co_i32 s9, s2, 37
	s_load_b32 s8, s[4:5], s8 offset:0x0 scale_offset
	s_wait_loadcnt 0x0
	ds_store_b32 v3, v1
	s_wait_xcnt 0x0
	s_load_b32 s4, s[4:5], s9 offset:0x0 scale_offset
	s_wait_xcnt 0x0
	s_mov_b32 s5, exec_lo
	s_wait_dscnt 0x0
	s_barrier_signal -1
	s_barrier_wait -1
	s_wait_kmcnt 0x0
	v_mov_b32_e32 v2, s8
	v_cmpx_ne_u32_e32 0, v0
; %bb.35:
	v_add_nc_u32_e32 v2, -4, v3
	ds_load_b32 v2, v2
; %bb.36:
	s_or_b32 exec_lo, exec_lo, s5
	s_wait_dscnt 0x0
	v_cmp_neq_f32_e32 vcc_lo, v1, v2
	v_mov_b32_e32 v2, 1
	s_and_saveexec_b32 s5, vcc_lo
; %bb.37:
	v_mul_lo_u16 v2, 0xcccd, v0
	s_delay_alu instid0(VALU_DEP_1) | instskip(SKIP_1) | instid1(VALU_DEP_1)
	v_lshlrev_b16 v4, 15, v2
	v_lshrrev_b16 v2, 1, v2
	v_or_b32_e32 v2, v2, v4
	s_delay_alu instid0(VALU_DEP_1)
	v_cmp_gt_u16_e32 vcc_lo, 0x199a, v2
	v_cndmask_b32_e64 v2, 0, 1, vcc_lo
; %bb.38:
	s_or_b32 exec_lo, exec_lo, s5
	v_mov_b32_e32 v4, s4
	s_mov_b32 s4, exec_lo
	ds_store_b32 v3, v1 offset:148
	s_wait_dscnt 0x0
	s_barrier_signal -1
	s_barrier_wait -1
	v_cmpx_ne_u32_e32 36, v0
; %bb.39:
	ds_load_b32 v4, v3 offset:152
; %bb.40:
	s_or_b32 exec_lo, exec_lo, s4
	s_mov_b32 s9, -1
	s_mov_b32 s4, exec_lo
	s_wait_dscnt 0x0
	v_cmpx_neq_f32_e32 v4, v1
; %bb.41:
	v_mad_u16 v1, 0xcccd, v0, 0xcccd
	s_delay_alu instid0(VALU_DEP_1) | instskip(SKIP_1) | instid1(VALU_DEP_1)
	v_lshlrev_b16 v3, 15, v1
	v_lshrrev_b16 v1, 1, v1
	v_or_b32_e32 v1, v1, v3
	s_delay_alu instid0(VALU_DEP_1)
	v_cmp_gt_u16_e32 vcc_lo, 0x199a, v1
	s_or_not1_b32 s9, vcc_lo, exec_lo
; %bb.42:
	s_or_b32 exec_lo, exec_lo, s4
.LBB63_43:
	s_mov_b32 s4, 0
	s_delay_alu instid0(SALU_CYCLE_1)
	v_dual_mov_b32 v3, 0 :: v_dual_mov_b32 v5, s4
	s_lshl_b64 s[2:3], s[2:3], 3
	v_cndmask_b32_e64 v4, 0, 1, s9
	s_add_nc_u64 s[4:5], s[6:7], s[2:3]
	s_add_nc_u64 s[0:1], s[0:1], s[2:3]
	s_clause 0x1
	global_store_b64 v0, v[2:3], s[4:5] scale_offset
	global_store_b64 v0, v[4:5], s[0:1] scale_offset
	s_endpgm
	.section	.rodata,"a",@progbits
	.p2align	6, 0x0
	.amdhsa_kernel _Z27flag_heads_and_tails_kernelIfi15custom_flag_op1IfELj37ELj1EEvPT_PxS4_
		.amdhsa_group_segment_fixed_size 296
		.amdhsa_private_segment_fixed_size 0
		.amdhsa_kernarg_size 24
		.amdhsa_user_sgpr_count 2
		.amdhsa_user_sgpr_dispatch_ptr 0
		.amdhsa_user_sgpr_queue_ptr 0
		.amdhsa_user_sgpr_kernarg_segment_ptr 1
		.amdhsa_user_sgpr_dispatch_id 0
		.amdhsa_user_sgpr_kernarg_preload_length 0
		.amdhsa_user_sgpr_kernarg_preload_offset 0
		.amdhsa_user_sgpr_private_segment_size 0
		.amdhsa_wavefront_size32 1
		.amdhsa_uses_dynamic_stack 0
		.amdhsa_enable_private_segment 0
		.amdhsa_system_sgpr_workgroup_id_x 1
		.amdhsa_system_sgpr_workgroup_id_y 0
		.amdhsa_system_sgpr_workgroup_id_z 0
		.amdhsa_system_sgpr_workgroup_info 0
		.amdhsa_system_vgpr_workitem_id 0
		.amdhsa_next_free_vgpr 6
		.amdhsa_next_free_sgpr 12
		.amdhsa_named_barrier_count 0
		.amdhsa_reserve_vcc 1
		.amdhsa_float_round_mode_32 0
		.amdhsa_float_round_mode_16_64 0
		.amdhsa_float_denorm_mode_32 3
		.amdhsa_float_denorm_mode_16_64 3
		.amdhsa_fp16_overflow 0
		.amdhsa_memory_ordered 1
		.amdhsa_forward_progress 1
		.amdhsa_inst_pref_size 11
		.amdhsa_round_robin_scheduling 0
		.amdhsa_exception_fp_ieee_invalid_op 0
		.amdhsa_exception_fp_denorm_src 0
		.amdhsa_exception_fp_ieee_div_zero 0
		.amdhsa_exception_fp_ieee_overflow 0
		.amdhsa_exception_fp_ieee_underflow 0
		.amdhsa_exception_fp_ieee_inexact 0
		.amdhsa_exception_int_div_zero 0
	.end_amdhsa_kernel
	.section	.text._Z27flag_heads_and_tails_kernelIfi15custom_flag_op1IfELj37ELj1EEvPT_PxS4_,"axG",@progbits,_Z27flag_heads_and_tails_kernelIfi15custom_flag_op1IfELj37ELj1EEvPT_PxS4_,comdat
.Lfunc_end63:
	.size	_Z27flag_heads_and_tails_kernelIfi15custom_flag_op1IfELj37ELj1EEvPT_PxS4_, .Lfunc_end63-_Z27flag_heads_and_tails_kernelIfi15custom_flag_op1IfELj37ELj1EEvPT_PxS4_
                                        ; -- End function
	.set _Z27flag_heads_and_tails_kernelIfi15custom_flag_op1IfELj37ELj1EEvPT_PxS4_.num_vgpr, 6
	.set _Z27flag_heads_and_tails_kernelIfi15custom_flag_op1IfELj37ELj1EEvPT_PxS4_.num_agpr, 0
	.set _Z27flag_heads_and_tails_kernelIfi15custom_flag_op1IfELj37ELj1EEvPT_PxS4_.numbered_sgpr, 12
	.set _Z27flag_heads_and_tails_kernelIfi15custom_flag_op1IfELj37ELj1EEvPT_PxS4_.num_named_barrier, 0
	.set _Z27flag_heads_and_tails_kernelIfi15custom_flag_op1IfELj37ELj1EEvPT_PxS4_.private_seg_size, 0
	.set _Z27flag_heads_and_tails_kernelIfi15custom_flag_op1IfELj37ELj1EEvPT_PxS4_.uses_vcc, 1
	.set _Z27flag_heads_and_tails_kernelIfi15custom_flag_op1IfELj37ELj1EEvPT_PxS4_.uses_flat_scratch, 0
	.set _Z27flag_heads_and_tails_kernelIfi15custom_flag_op1IfELj37ELj1EEvPT_PxS4_.has_dyn_sized_stack, 0
	.set _Z27flag_heads_and_tails_kernelIfi15custom_flag_op1IfELj37ELj1EEvPT_PxS4_.has_recursion, 0
	.set _Z27flag_heads_and_tails_kernelIfi15custom_flag_op1IfELj37ELj1EEvPT_PxS4_.has_indirect_call, 0
	.section	.AMDGPU.csdata,"",@progbits
; Kernel info:
; codeLenInByte = 1324
; TotalNumSgprs: 14
; NumVgprs: 6
; ScratchSize: 0
; MemoryBound: 0
; FloatMode: 240
; IeeeMode: 1
; LDSByteSize: 296 bytes/workgroup (compile time only)
; SGPRBlocks: 0
; VGPRBlocks: 0
; NumSGPRsForWavesPerEU: 14
; NumVGPRsForWavesPerEU: 6
; NamedBarCnt: 0
; Occupancy: 16
; WaveLimiterHint : 0
; COMPUTE_PGM_RSRC2:SCRATCH_EN: 0
; COMPUTE_PGM_RSRC2:USER_SGPR: 2
; COMPUTE_PGM_RSRC2:TRAP_HANDLER: 0
; COMPUTE_PGM_RSRC2:TGID_X_EN: 1
; COMPUTE_PGM_RSRC2:TGID_Y_EN: 0
; COMPUTE_PGM_RSRC2:TGID_Z_EN: 0
; COMPUTE_PGM_RSRC2:TIDIG_COMP_CNT: 0
	.section	.text._Z27flag_heads_and_tails_kernelIdjN10test_utils7greaterELj65ELj1EEvPT_PxS4_,"axG",@progbits,_Z27flag_heads_and_tails_kernelIdjN10test_utils7greaterELj65ELj1EEvPT_PxS4_,comdat
	.protected	_Z27flag_heads_and_tails_kernelIdjN10test_utils7greaterELj65ELj1EEvPT_PxS4_ ; -- Begin function _Z27flag_heads_and_tails_kernelIdjN10test_utils7greaterELj65ELj1EEvPT_PxS4_
	.globl	_Z27flag_heads_and_tails_kernelIdjN10test_utils7greaterELj65ELj1EEvPT_PxS4_
	.p2align	8
	.type	_Z27flag_heads_and_tails_kernelIdjN10test_utils7greaterELj65ELj1EEvPT_PxS4_,@function
_Z27flag_heads_and_tails_kernelIdjN10test_utils7greaterELj65ELj1EEvPT_PxS4_: ; @_Z27flag_heads_and_tails_kernelIdjN10test_utils7greaterELj65ELj1EEvPT_PxS4_
; %bb.0:
	s_load_b128 s[4:7], s[0:1], 0x0
	s_bfe_u32 s2, ttmp6, 0x4000c
	s_and_b32 s3, ttmp6, 15
	s_add_co_i32 s2, s2, 1
	s_getreg_b32 s8, hwreg(HW_REG_IB_STS2, 6, 4)
	s_mul_i32 s2, ttmp9, s2
	s_mov_b32 s11, 0
	s_add_co_i32 s3, s3, s2
	s_cmp_eq_u32 s8, 0
	s_load_b64 s[8:9], s[0:1], 0x10
	s_cselect_b32 s12, ttmp9, s3
	s_delay_alu instid0(SALU_CYCLE_1) | instskip(NEXT) | instid1(SALU_CYCLE_1)
	s_mul_i32 s10, s12, 0x41
	s_lshl_b64 s[2:3], s[10:11], 3
	s_wait_kmcnt 0x0
	s_add_nc_u64 s[0:1], s[4:5], s[2:3]
	global_load_b64 v[2:3], v0, s[0:1] scale_offset
	s_wait_xcnt 0x0
	s_and_b32 s1, s12, 3
	s_delay_alu instid0(SALU_CYCLE_1)
	s_cmp_lt_i32 s1, 2
	s_cbranch_scc1 .LBB64_8
; %bb.1:
	s_cmp_gt_i32 s1, 2
	s_cbranch_scc0 .LBB64_9
; %bb.2:
	v_dual_mov_b32 v4, 1 :: v_dual_lshlrev_b32 v1, 3, v0
	s_mov_b32 s0, exec_lo
	s_wait_loadcnt 0x0
	ds_store_b64 v1, v[2:3]
	s_wait_dscnt 0x0
	s_barrier_signal -1
	s_barrier_wait -1
	v_cmpx_ne_u32_e32 0, v0
	s_cbranch_execz .LBB64_4
; %bb.3:
	v_add_nc_u32_e32 v4, -8, v1
	ds_load_b64 v[4:5], v4
	s_wait_dscnt 0x0
	v_cmp_gt_f64_e32 vcc_lo, v[2:3], v[4:5]
	v_cndmask_b32_e64 v4, 0, 1, vcc_lo
.LBB64_4:
	s_or_b32 exec_lo, exec_lo, s0
	s_mov_b32 s11, -1
	s_mov_b32 s0, exec_lo
	ds_store_b64 v1, v[2:3] offset:520
	s_wait_dscnt 0x0
	s_barrier_signal -1
	s_barrier_wait -1
	v_cmpx_ne_u32_e32 64, v0
	s_cbranch_execz .LBB64_6
; %bb.5:
	ds_load_b64 v[6:7], v1 offset:528
	s_wait_dscnt 0x0
	v_cmp_gt_f64_e32 vcc_lo, v[6:7], v[2:3]
	s_or_not1_b32 s11, vcc_lo, exec_lo
.LBB64_6:
	s_or_b32 exec_lo, exec_lo, s0
.LBB64_7:
	s_cbranch_execz .LBB64_15
	s_branch .LBB64_27
.LBB64_8:
                                        ; implicit-def: $sgpr11
                                        ; implicit-def: $vgpr4
	s_branch .LBB64_15
.LBB64_9:
                                        ; implicit-def: $sgpr11
                                        ; implicit-def: $vgpr4
	s_cbranch_execz .LBB64_7
; %bb.10:
	s_add_co_i32 s0, s10, -1
	v_lshlrev_b32_e32 v1, 3, v0
	s_load_b64 s[12:13], s[4:5], s0 offset:0x0 scale_offset
	s_mov_b32 s11, -1
	s_wait_xcnt 0x0
	s_mov_b32 s0, exec_lo
	s_wait_loadcnt 0x0
	ds_store_b64 v1, v[2:3]
	s_wait_dscnt 0x0
	s_barrier_signal -1
	s_barrier_wait -1
	s_wait_kmcnt 0x0
	v_mov_b64_e32 v[4:5], s[12:13]
	v_cmpx_ne_u32_e32 0, v0
; %bb.11:
	v_add_nc_u32_e32 v4, -8, v1
	ds_load_b64 v[4:5], v4
; %bb.12:
	s_or_b32 exec_lo, exec_lo, s0
	s_delay_alu instid0(SALU_CYCLE_1)
	s_mov_b32 s12, exec_lo
	s_wait_dscnt 0x0
	v_cmp_gt_f64_e32 vcc_lo, v[2:3], v[4:5]
	ds_store_b64 v1, v[2:3] offset:520
	s_wait_dscnt 0x0
	s_barrier_signal -1
	s_barrier_wait -1
	v_cmpx_ne_u32_e32 64, v0
	s_cbranch_execz .LBB64_14
; %bb.13:
	ds_load_b64 v[4:5], v1 offset:528
	s_wait_dscnt 0x0
	v_cmp_gt_f64_e64 s0, v[4:5], v[2:3]
	s_or_not1_b32 s11, s0, exec_lo
.LBB64_14:
	s_or_b32 exec_lo, exec_lo, s12
	v_cndmask_b32_e64 v4, 0, 1, vcc_lo
	s_cbranch_execnz .LBB64_27
.LBB64_15:
	v_lshlrev_b32_e32 v1, 3, v0
	s_cmp_eq_u32 s1, 1
	v_cmp_ne_u32_e32 vcc_lo, 0, v0
	s_cbranch_scc1 .LBB64_21
; %bb.16:
	s_add_co_i32 s0, s10, 0x41
	v_mov_b32_e32 v4, 1
	s_load_b64 s[0:1], s[4:5], s0 offset:0x0 scale_offset
	s_wait_loadcnt 0x0
	ds_store_b64 v1, v[2:3]
	s_wait_dscnt 0x0
	s_barrier_signal -1
	s_barrier_wait -1
	s_and_saveexec_b32 s11, vcc_lo
	s_cbranch_execz .LBB64_18
; %bb.17:
	v_add_nc_u32_e32 v4, -8, v1
	ds_load_b64 v[4:5], v4
	s_wait_dscnt 0x0
	v_cmp_gt_f64_e32 vcc_lo, v[2:3], v[4:5]
	v_cndmask_b32_e64 v4, 0, 1, vcc_lo
.LBB64_18:
	s_or_b32 exec_lo, exec_lo, s11
	s_wait_kmcnt 0x0
	v_mov_b64_e32 v[6:7], s[0:1]
	s_mov_b32 s0, exec_lo
	ds_store_b64 v1, v[2:3] offset:520
	s_wait_dscnt 0x0
	s_barrier_signal -1
	s_barrier_wait -1
	v_cmpx_ne_u32_e32 64, v0
; %bb.19:
	ds_load_b64 v[6:7], v1 offset:528
; %bb.20:
	s_or_b32 exec_lo, exec_lo, s0
	s_wait_dscnt 0x0
	v_cmp_gt_f64_e64 s11, v[6:7], v[2:3]
	s_branch .LBB64_27
.LBB64_21:
                                        ; implicit-def: $sgpr11
                                        ; implicit-def: $vgpr4
	s_cbranch_execz .LBB64_27
; %bb.22:
	s_add_co_i32 s0, s10, -1
	s_wait_loadcnt 0x0
	ds_store_b64 v1, v[2:3]
	s_load_b64 s[12:13], s[4:5], s0 offset:0x0 scale_offset
	s_wait_xcnt 0x0
	s_add_co_i32 s0, s10, 0x41
	s_load_b64 s[0:1], s[4:5], s0 offset:0x0 scale_offset
	s_wait_xcnt 0x0
	s_mov_b32 s4, exec_lo
	s_wait_dscnt 0x0
	s_barrier_signal -1
	s_barrier_wait -1
	s_wait_kmcnt 0x0
	v_mov_b64_e32 v[4:5], s[12:13]
	v_cmpx_ne_u32_e32 0, v0
; %bb.23:
	v_add_nc_u32_e32 v4, -8, v1
	ds_load_b64 v[4:5], v4
; %bb.24:
	s_or_b32 exec_lo, exec_lo, s4
	v_mov_b64_e32 v[6:7], s[0:1]
	s_mov_b32 s0, exec_lo
	ds_store_b64 v1, v[2:3] offset:520
	s_wait_dscnt 0x0
	s_barrier_signal -1
	s_barrier_wait -1
	v_cmpx_ne_u32_e32 64, v0
; %bb.25:
	ds_load_b64 v[6:7], v1 offset:528
; %bb.26:
	s_or_b32 exec_lo, exec_lo, s0
	v_cmp_gt_f64_e32 vcc_lo, v[2:3], v[4:5]
	s_wait_dscnt 0x0
	v_cmp_gt_f64_e64 s11, v[6:7], v[2:3]
	v_cndmask_b32_e64 v4, 0, 1, vcc_lo
.LBB64_27:
	s_mov_b32 s0, 0
	s_wait_loadcnt 0x0
	v_dual_mov_b32 v5, 0 :: v_dual_mov_b32 v3, s0
	s_delay_alu instid0(VALU_DEP_2)
	v_cndmask_b32_e64 v2, 0, 1, s11
	s_add_nc_u64 s[0:1], s[6:7], s[2:3]
	s_add_nc_u64 s[2:3], s[8:9], s[2:3]
	s_clause 0x1
	global_store_b64 v0, v[4:5], s[0:1] scale_offset
	global_store_b64 v0, v[2:3], s[2:3] scale_offset
	s_endpgm
	.section	.rodata,"a",@progbits
	.p2align	6, 0x0
	.amdhsa_kernel _Z27flag_heads_and_tails_kernelIdjN10test_utils7greaterELj65ELj1EEvPT_PxS4_
		.amdhsa_group_segment_fixed_size 1040
		.amdhsa_private_segment_fixed_size 0
		.amdhsa_kernarg_size 24
		.amdhsa_user_sgpr_count 2
		.amdhsa_user_sgpr_dispatch_ptr 0
		.amdhsa_user_sgpr_queue_ptr 0
		.amdhsa_user_sgpr_kernarg_segment_ptr 1
		.amdhsa_user_sgpr_dispatch_id 0
		.amdhsa_user_sgpr_kernarg_preload_length 0
		.amdhsa_user_sgpr_kernarg_preload_offset 0
		.amdhsa_user_sgpr_private_segment_size 0
		.amdhsa_wavefront_size32 1
		.amdhsa_uses_dynamic_stack 0
		.amdhsa_enable_private_segment 0
		.amdhsa_system_sgpr_workgroup_id_x 1
		.amdhsa_system_sgpr_workgroup_id_y 0
		.amdhsa_system_sgpr_workgroup_id_z 0
		.amdhsa_system_sgpr_workgroup_info 0
		.amdhsa_system_vgpr_workitem_id 0
		.amdhsa_next_free_vgpr 8
		.amdhsa_next_free_sgpr 14
		.amdhsa_named_barrier_count 0
		.amdhsa_reserve_vcc 1
		.amdhsa_float_round_mode_32 0
		.amdhsa_float_round_mode_16_64 0
		.amdhsa_float_denorm_mode_32 3
		.amdhsa_float_denorm_mode_16_64 3
		.amdhsa_fp16_overflow 0
		.amdhsa_memory_ordered 1
		.amdhsa_forward_progress 1
		.amdhsa_inst_pref_size 7
		.amdhsa_round_robin_scheduling 0
		.amdhsa_exception_fp_ieee_invalid_op 0
		.amdhsa_exception_fp_denorm_src 0
		.amdhsa_exception_fp_ieee_div_zero 0
		.amdhsa_exception_fp_ieee_overflow 0
		.amdhsa_exception_fp_ieee_underflow 0
		.amdhsa_exception_fp_ieee_inexact 0
		.amdhsa_exception_int_div_zero 0
	.end_amdhsa_kernel
	.section	.text._Z27flag_heads_and_tails_kernelIdjN10test_utils7greaterELj65ELj1EEvPT_PxS4_,"axG",@progbits,_Z27flag_heads_and_tails_kernelIdjN10test_utils7greaterELj65ELj1EEvPT_PxS4_,comdat
.Lfunc_end64:
	.size	_Z27flag_heads_and_tails_kernelIdjN10test_utils7greaterELj65ELj1EEvPT_PxS4_, .Lfunc_end64-_Z27flag_heads_and_tails_kernelIdjN10test_utils7greaterELj65ELj1EEvPT_PxS4_
                                        ; -- End function
	.set _Z27flag_heads_and_tails_kernelIdjN10test_utils7greaterELj65ELj1EEvPT_PxS4_.num_vgpr, 8
	.set _Z27flag_heads_and_tails_kernelIdjN10test_utils7greaterELj65ELj1EEvPT_PxS4_.num_agpr, 0
	.set _Z27flag_heads_and_tails_kernelIdjN10test_utils7greaterELj65ELj1EEvPT_PxS4_.numbered_sgpr, 14
	.set _Z27flag_heads_and_tails_kernelIdjN10test_utils7greaterELj65ELj1EEvPT_PxS4_.num_named_barrier, 0
	.set _Z27flag_heads_and_tails_kernelIdjN10test_utils7greaterELj65ELj1EEvPT_PxS4_.private_seg_size, 0
	.set _Z27flag_heads_and_tails_kernelIdjN10test_utils7greaterELj65ELj1EEvPT_PxS4_.uses_vcc, 1
	.set _Z27flag_heads_and_tails_kernelIdjN10test_utils7greaterELj65ELj1EEvPT_PxS4_.uses_flat_scratch, 0
	.set _Z27flag_heads_and_tails_kernelIdjN10test_utils7greaterELj65ELj1EEvPT_PxS4_.has_dyn_sized_stack, 0
	.set _Z27flag_heads_and_tails_kernelIdjN10test_utils7greaterELj65ELj1EEvPT_PxS4_.has_recursion, 0
	.set _Z27flag_heads_and_tails_kernelIdjN10test_utils7greaterELj65ELj1EEvPT_PxS4_.has_indirect_call, 0
	.section	.AMDGPU.csdata,"",@progbits
; Kernel info:
; codeLenInByte = 836
; TotalNumSgprs: 16
; NumVgprs: 8
; ScratchSize: 0
; MemoryBound: 0
; FloatMode: 240
; IeeeMode: 1
; LDSByteSize: 1040 bytes/workgroup (compile time only)
; SGPRBlocks: 0
; VGPRBlocks: 0
; NumSGPRsForWavesPerEU: 16
; NumVGPRsForWavesPerEU: 8
; NamedBarCnt: 0
; Occupancy: 16
; WaveLimiterHint : 0
; COMPUTE_PGM_RSRC2:SCRATCH_EN: 0
; COMPUTE_PGM_RSRC2:USER_SGPR: 2
; COMPUTE_PGM_RSRC2:TRAP_HANDLER: 0
; COMPUTE_PGM_RSRC2:TGID_X_EN: 1
; COMPUTE_PGM_RSRC2:TGID_Y_EN: 0
; COMPUTE_PGM_RSRC2:TGID_Z_EN: 0
; COMPUTE_PGM_RSRC2:TIDIG_COMP_CNT: 0
	.section	.text._Z27flag_heads_and_tails_kernelIib15custom_flag_op1IiELj256ELj1EEvPT_PxS4_,"axG",@progbits,_Z27flag_heads_and_tails_kernelIib15custom_flag_op1IiELj256ELj1EEvPT_PxS4_,comdat
	.protected	_Z27flag_heads_and_tails_kernelIib15custom_flag_op1IiELj256ELj1EEvPT_PxS4_ ; -- Begin function _Z27flag_heads_and_tails_kernelIib15custom_flag_op1IiELj256ELj1EEvPT_PxS4_
	.globl	_Z27flag_heads_and_tails_kernelIib15custom_flag_op1IiELj256ELj1EEvPT_PxS4_
	.p2align	8
	.type	_Z27flag_heads_and_tails_kernelIib15custom_flag_op1IiELj256ELj1EEvPT_PxS4_,@function
_Z27flag_heads_and_tails_kernelIib15custom_flag_op1IiELj256ELj1EEvPT_PxS4_: ; @_Z27flag_heads_and_tails_kernelIib15custom_flag_op1IiELj256ELj1EEvPT_PxS4_
; %bb.0:
	s_load_b128 s[4:7], s[0:1], 0x0
	s_bfe_u32 s2, ttmp6, 0x4000c
	s_and_b32 s3, ttmp6, 15
	s_add_co_i32 s2, s2, 1
	s_getreg_b32 s8, hwreg(HW_REG_IB_STS2, 6, 4)
	s_mul_i32 s2, ttmp9, s2
	s_wait_xcnt 0x0
	s_load_b64 s[0:1], s[0:1], 0x10
	s_add_co_i32 s3, s3, s2
	s_cmp_eq_u32 s8, 0
	s_cselect_b32 s10, ttmp9, s3
	s_mov_b32 s3, 0
	s_lshl_b32 s2, s10, 8
	s_delay_alu instid0(SALU_CYCLE_1)
	s_lshl_b64 s[8:9], s[2:3], 2
	s_wait_kmcnt 0x0
	s_add_nc_u64 s[8:9], s[4:5], s[8:9]
	global_load_b32 v1, v0, s[8:9] scale_offset
	s_wait_xcnt 0x0
	s_and_b32 s8, s10, 3
	s_delay_alu instid0(SALU_CYCLE_1)
	s_cmp_lt_i32 s8, 2
	s_cbranch_scc1 .LBB65_12
; %bb.1:
	s_cmp_gt_i32 s8, 2
	s_cbranch_scc0 .LBB65_13
; %bb.2:
	v_dual_mov_b32 v2, 1 :: v_dual_lshlrev_b32 v3, 2, v0
	s_mov_b32 s9, exec_lo
	s_wait_loadcnt 0x0
	ds_store_b32 v3, v1
	s_wait_dscnt 0x0
	s_barrier_signal -1
	s_barrier_wait -1
	v_cmpx_ne_u32_e32 0, v0
	s_cbranch_execz .LBB65_6
; %bb.3:
	v_add_nc_u32_e32 v2, -4, v3
	s_mov_b32 s11, -1
	s_mov_b32 s10, exec_lo
	ds_load_b32 v2, v2
	s_wait_dscnt 0x0
	v_cmpx_ne_u32_e64 v1, v2
; %bb.4:
	v_mul_lo_u16 v2, 0xcccd, v0
	s_delay_alu instid0(VALU_DEP_1) | instskip(SKIP_1) | instid1(VALU_DEP_1)
	v_lshlrev_b16 v4, 15, v2
	v_lshrrev_b16 v2, 1, v2
	v_or_b32_e32 v2, v2, v4
	s_delay_alu instid0(VALU_DEP_1)
	v_cmp_gt_u16_e32 vcc_lo, 0x199a, v2
	s_or_not1_b32 s11, vcc_lo, exec_lo
; %bb.5:
	s_or_b32 exec_lo, exec_lo, s10
	v_cndmask_b32_e64 v2, 0, 1, s11
.LBB65_6:
	s_or_b32 exec_lo, exec_lo, s9
	s_mov_b32 s9, -1
	s_mov_b32 s10, exec_lo
	ds_store_b32 v3, v1 offset:1024
	s_wait_dscnt 0x0
	s_barrier_signal -1
	s_barrier_wait -1
	v_cmpx_ne_u32_e32 0xff, v0
	s_cbranch_execz .LBB65_10
; %bb.7:
	ds_load_b32 v3, v3 offset:1028
	s_mov_b32 s11, -1
	s_mov_b32 s9, exec_lo
	s_wait_dscnt 0x0
	v_cmpx_ne_u32_e64 v3, v1
; %bb.8:
	v_mad_u16 v3, 0xcccd, v0, 0xcccd
	s_delay_alu instid0(VALU_DEP_1) | instskip(SKIP_1) | instid1(VALU_DEP_1)
	v_lshlrev_b16 v4, 15, v3
	v_lshrrev_b16 v3, 1, v3
	v_or_b32_e32 v3, v3, v4
	s_delay_alu instid0(VALU_DEP_1)
	v_cmp_gt_u16_e32 vcc_lo, 0x199a, v3
	s_or_not1_b32 s11, vcc_lo, exec_lo
; %bb.9:
	s_or_b32 exec_lo, exec_lo, s9
	s_delay_alu instid0(SALU_CYCLE_1)
	s_or_not1_b32 s9, s11, exec_lo
.LBB65_10:
	s_or_b32 exec_lo, exec_lo, s10
.LBB65_11:
	s_cbranch_execz .LBB65_23
	s_branch .LBB65_43
.LBB65_12:
                                        ; implicit-def: $sgpr9
                                        ; implicit-def: $vgpr2
	s_branch .LBB65_23
.LBB65_13:
                                        ; implicit-def: $sgpr9
                                        ; implicit-def: $vgpr2
	s_cbranch_execz .LBB65_11
; %bb.14:
	s_add_co_i32 s9, s2, -1
	s_mov_b32 s10, -1
	s_load_b32 s9, s[4:5], s9 offset:0x0 scale_offset
	s_wait_kmcnt 0x0
	v_dual_mov_b32 v3, s9 :: v_dual_lshlrev_b32 v2, 2, v0
	s_mov_b32 s9, exec_lo
	s_wait_loadcnt 0x0
	ds_store_b32 v2, v1
	s_wait_dscnt 0x0
	s_barrier_signal -1
	s_barrier_wait -1
	v_cmpx_ne_u32_e32 0, v0
; %bb.15:
	v_add_nc_u32_e32 v3, -4, v2
	ds_load_b32 v3, v3
; %bb.16:
	s_or_b32 exec_lo, exec_lo, s9
	s_delay_alu instid0(SALU_CYCLE_1)
	s_mov_b32 s9, exec_lo
	s_wait_dscnt 0x0
	v_cmpx_ne_u32_e64 v1, v3
; %bb.17:
	v_mul_lo_u16 v3, 0xcccd, v0
	s_delay_alu instid0(VALU_DEP_1) | instskip(SKIP_1) | instid1(VALU_DEP_1)
	v_lshlrev_b16 v4, 15, v3
	v_lshrrev_b16 v3, 1, v3
	v_or_b32_e32 v3, v3, v4
	s_delay_alu instid0(VALU_DEP_1)
	v_cmp_gt_u16_e32 vcc_lo, 0x199a, v3
	s_or_not1_b32 s10, vcc_lo, exec_lo
; %bb.18:
	s_or_b32 exec_lo, exec_lo, s9
	s_mov_b32 s9, -1
	s_mov_b32 s11, exec_lo
	ds_store_b32 v2, v1 offset:1024
	s_wait_dscnt 0x0
	s_barrier_signal -1
	s_barrier_wait -1
	v_cmpx_ne_u32_e32 0xff, v0
	s_cbranch_execz .LBB65_22
; %bb.19:
	ds_load_b32 v2, v2 offset:1028
	s_mov_b32 s12, -1
	s_mov_b32 s9, exec_lo
	s_wait_dscnt 0x0
	v_cmpx_ne_u32_e64 v2, v1
; %bb.20:
	v_mad_u16 v2, 0xcccd, v0, 0xcccd
	s_delay_alu instid0(VALU_DEP_1) | instskip(SKIP_1) | instid1(VALU_DEP_1)
	v_lshlrev_b16 v3, 15, v2
	v_lshrrev_b16 v2, 1, v2
	v_or_b32_e32 v2, v2, v3
	s_delay_alu instid0(VALU_DEP_1)
	v_cmp_gt_u16_e32 vcc_lo, 0x199a, v2
	s_or_not1_b32 s12, vcc_lo, exec_lo
; %bb.21:
	s_or_b32 exec_lo, exec_lo, s9
	s_delay_alu instid0(SALU_CYCLE_1)
	s_or_not1_b32 s9, s12, exec_lo
.LBB65_22:
	s_or_b32 exec_lo, exec_lo, s11
	v_cndmask_b32_e64 v2, 0, 1, s10
	s_cbranch_execnz .LBB65_43
.LBB65_23:
	v_lshlrev_b32_e32 v3, 2, v0
	s_cmp_eq_u32 s8, 1
	v_cmp_ne_u32_e32 vcc_lo, 0, v0
	s_cbranch_scc1 .LBB65_33
; %bb.24:
	s_add_co_i32 s8, s2, 0x100
	v_mov_b32_e32 v2, 1
	s_load_b32 s8, s[4:5], s8 offset:0x0 scale_offset
	s_wait_loadcnt 0x0
	ds_store_b32 v3, v1
	s_wait_dscnt 0x0
	s_barrier_signal -1
	s_barrier_wait -1
	s_and_saveexec_b32 s9, vcc_lo
	s_cbranch_execz .LBB65_28
; %bb.25:
	v_add_nc_u32_e32 v2, -4, v3
	s_mov_b32 s11, -1
	s_mov_b32 s10, exec_lo
	ds_load_b32 v2, v2
	s_wait_dscnt 0x0
	v_cmpx_ne_u32_e64 v1, v2
; %bb.26:
	v_mul_lo_u16 v2, 0xcccd, v0
	s_delay_alu instid0(VALU_DEP_1) | instskip(SKIP_1) | instid1(VALU_DEP_1)
	v_lshlrev_b16 v4, 15, v2
	v_lshrrev_b16 v2, 1, v2
	v_or_b32_e32 v2, v2, v4
	s_delay_alu instid0(VALU_DEP_1)
	v_cmp_gt_u16_e32 vcc_lo, 0x199a, v2
	s_or_not1_b32 s11, vcc_lo, exec_lo
; %bb.27:
	s_or_b32 exec_lo, exec_lo, s10
	v_cndmask_b32_e64 v2, 0, 1, s11
.LBB65_28:
	s_or_b32 exec_lo, exec_lo, s9
	s_wait_kmcnt 0x0
	v_mov_b32_e32 v4, s8
	s_mov_b32 s8, exec_lo
	ds_store_b32 v3, v1 offset:1024
	s_wait_dscnt 0x0
	s_barrier_signal -1
	s_barrier_wait -1
	v_cmpx_ne_u32_e32 0xff, v0
; %bb.29:
	ds_load_b32 v4, v3 offset:1028
; %bb.30:
	s_or_b32 exec_lo, exec_lo, s8
	s_mov_b32 s9, -1
	s_mov_b32 s8, exec_lo
	s_wait_dscnt 0x0
	v_cmpx_ne_u32_e64 v4, v1
; %bb.31:
	v_mad_u16 v4, 0xcccd, v0, 0xcccd
	s_delay_alu instid0(VALU_DEP_1) | instskip(SKIP_1) | instid1(VALU_DEP_1)
	v_lshlrev_b16 v5, 15, v4
	v_lshrrev_b16 v4, 1, v4
	v_or_b32_e32 v4, v4, v5
	s_delay_alu instid0(VALU_DEP_1)
	v_cmp_gt_u16_e32 vcc_lo, 0x199a, v4
	s_or_not1_b32 s9, vcc_lo, exec_lo
; %bb.32:
	s_or_b32 exec_lo, exec_lo, s8
	s_branch .LBB65_43
.LBB65_33:
                                        ; implicit-def: $sgpr9
                                        ; implicit-def: $vgpr2
	s_cbranch_execz .LBB65_43
; %bb.34:
	s_add_co_i32 s8, s2, -1
	s_add_co_i32 s9, s2, 0x100
	s_load_b32 s8, s[4:5], s8 offset:0x0 scale_offset
	s_wait_loadcnt 0x0
	ds_store_b32 v3, v1
	s_wait_xcnt 0x0
	s_load_b32 s5, s[4:5], s9 offset:0x0 scale_offset
	s_wait_xcnt 0x0
	s_mov_b32 s4, -1
	s_wait_dscnt 0x0
	s_barrier_signal -1
	s_barrier_wait -1
	s_wait_kmcnt 0x0
	v_mov_b32_e32 v2, s8
	s_mov_b32 s8, exec_lo
	v_cmpx_ne_u32_e32 0, v0
; %bb.35:
	v_add_nc_u32_e32 v2, -4, v3
	ds_load_b32 v2, v2
; %bb.36:
	s_or_b32 exec_lo, exec_lo, s8
	s_delay_alu instid0(SALU_CYCLE_1)
	s_mov_b32 s8, exec_lo
	s_wait_dscnt 0x0
	v_cmpx_ne_u32_e64 v1, v2
; %bb.37:
	v_mul_lo_u16 v2, 0xcccd, v0
	s_delay_alu instid0(VALU_DEP_1) | instskip(SKIP_1) | instid1(VALU_DEP_1)
	v_lshlrev_b16 v4, 15, v2
	v_lshrrev_b16 v2, 1, v2
	v_or_b32_e32 v2, v2, v4
	s_delay_alu instid0(VALU_DEP_1)
	v_cmp_gt_u16_e32 vcc_lo, 0x199a, v2
	s_or_not1_b32 s4, vcc_lo, exec_lo
; %bb.38:
	s_or_b32 exec_lo, exec_lo, s8
	v_mov_b32_e32 v2, s5
	s_mov_b32 s5, exec_lo
	ds_store_b32 v3, v1 offset:1024
	s_wait_dscnt 0x0
	s_barrier_signal -1
	s_barrier_wait -1
	v_cmpx_ne_u32_e32 0xff, v0
; %bb.39:
	ds_load_b32 v2, v3 offset:1028
; %bb.40:
	s_or_b32 exec_lo, exec_lo, s5
	s_mov_b32 s9, -1
	s_mov_b32 s5, exec_lo
	s_wait_dscnt 0x0
	v_cmpx_ne_u32_e64 v2, v1
; %bb.41:
	v_mad_u16 v1, 0xcccd, v0, 0xcccd
	s_delay_alu instid0(VALU_DEP_1) | instskip(SKIP_1) | instid1(VALU_DEP_1)
	v_lshlrev_b16 v2, 15, v1
	v_lshrrev_b16 v1, 1, v1
	v_or_b32_e32 v1, v1, v2
	s_delay_alu instid0(VALU_DEP_1)
	v_cmp_gt_u16_e32 vcc_lo, 0x199a, v1
	s_or_not1_b32 s9, vcc_lo, exec_lo
; %bb.42:
	s_or_b32 exec_lo, exec_lo, s5
	v_cndmask_b32_e64 v2, 0, 1, s4
.LBB65_43:
	s_mov_b32 s4, 0
	s_delay_alu instid0(VALU_DEP_1)
	v_and_b32_e32 v2, 0xff, v2
	v_dual_mov_b32 v3, 0 :: v_dual_mov_b32 v5, s4
	s_lshl_b64 s[2:3], s[2:3], 3
	v_cndmask_b32_e64 v4, 0, 1, s9
	s_add_nc_u64 s[4:5], s[6:7], s[2:3]
	s_add_nc_u64 s[0:1], s[0:1], s[2:3]
	s_clause 0x1
	global_store_b64 v0, v[2:3], s[4:5] scale_offset
	global_store_b64 v0, v[4:5], s[0:1] scale_offset
	s_endpgm
	.section	.rodata,"a",@progbits
	.p2align	6, 0x0
	.amdhsa_kernel _Z27flag_heads_and_tails_kernelIib15custom_flag_op1IiELj256ELj1EEvPT_PxS4_
		.amdhsa_group_segment_fixed_size 2048
		.amdhsa_private_segment_fixed_size 0
		.amdhsa_kernarg_size 24
		.amdhsa_user_sgpr_count 2
		.amdhsa_user_sgpr_dispatch_ptr 0
		.amdhsa_user_sgpr_queue_ptr 0
		.amdhsa_user_sgpr_kernarg_segment_ptr 1
		.amdhsa_user_sgpr_dispatch_id 0
		.amdhsa_user_sgpr_kernarg_preload_length 0
		.amdhsa_user_sgpr_kernarg_preload_offset 0
		.amdhsa_user_sgpr_private_segment_size 0
		.amdhsa_wavefront_size32 1
		.amdhsa_uses_dynamic_stack 0
		.amdhsa_enable_private_segment 0
		.amdhsa_system_sgpr_workgroup_id_x 1
		.amdhsa_system_sgpr_workgroup_id_y 0
		.amdhsa_system_sgpr_workgroup_id_z 0
		.amdhsa_system_sgpr_workgroup_info 0
		.amdhsa_system_vgpr_workitem_id 0
		.amdhsa_next_free_vgpr 6
		.amdhsa_next_free_sgpr 13
		.amdhsa_named_barrier_count 0
		.amdhsa_reserve_vcc 1
		.amdhsa_float_round_mode_32 0
		.amdhsa_float_round_mode_16_64 0
		.amdhsa_float_denorm_mode_32 3
		.amdhsa_float_denorm_mode_16_64 3
		.amdhsa_fp16_overflow 0
		.amdhsa_memory_ordered 1
		.amdhsa_forward_progress 1
		.amdhsa_inst_pref_size 11
		.amdhsa_round_robin_scheduling 0
		.amdhsa_exception_fp_ieee_invalid_op 0
		.amdhsa_exception_fp_denorm_src 0
		.amdhsa_exception_fp_ieee_div_zero 0
		.amdhsa_exception_fp_ieee_overflow 0
		.amdhsa_exception_fp_ieee_underflow 0
		.amdhsa_exception_fp_ieee_inexact 0
		.amdhsa_exception_int_div_zero 0
	.end_amdhsa_kernel
	.section	.text._Z27flag_heads_and_tails_kernelIib15custom_flag_op1IiELj256ELj1EEvPT_PxS4_,"axG",@progbits,_Z27flag_heads_and_tails_kernelIib15custom_flag_op1IiELj256ELj1EEvPT_PxS4_,comdat
.Lfunc_end65:
	.size	_Z27flag_heads_and_tails_kernelIib15custom_flag_op1IiELj256ELj1EEvPT_PxS4_, .Lfunc_end65-_Z27flag_heads_and_tails_kernelIib15custom_flag_op1IiELj256ELj1EEvPT_PxS4_
                                        ; -- End function
	.set _Z27flag_heads_and_tails_kernelIib15custom_flag_op1IiELj256ELj1EEvPT_PxS4_.num_vgpr, 6
	.set _Z27flag_heads_and_tails_kernelIib15custom_flag_op1IiELj256ELj1EEvPT_PxS4_.num_agpr, 0
	.set _Z27flag_heads_and_tails_kernelIib15custom_flag_op1IiELj256ELj1EEvPT_PxS4_.numbered_sgpr, 13
	.set _Z27flag_heads_and_tails_kernelIib15custom_flag_op1IiELj256ELj1EEvPT_PxS4_.num_named_barrier, 0
	.set _Z27flag_heads_and_tails_kernelIib15custom_flag_op1IiELj256ELj1EEvPT_PxS4_.private_seg_size, 0
	.set _Z27flag_heads_and_tails_kernelIib15custom_flag_op1IiELj256ELj1EEvPT_PxS4_.uses_vcc, 1
	.set _Z27flag_heads_and_tails_kernelIib15custom_flag_op1IiELj256ELj1EEvPT_PxS4_.uses_flat_scratch, 0
	.set _Z27flag_heads_and_tails_kernelIib15custom_flag_op1IiELj256ELj1EEvPT_PxS4_.has_dyn_sized_stack, 0
	.set _Z27flag_heads_and_tails_kernelIib15custom_flag_op1IiELj256ELj1EEvPT_PxS4_.has_recursion, 0
	.set _Z27flag_heads_and_tails_kernelIib15custom_flag_op1IiELj256ELj1EEvPT_PxS4_.has_indirect_call, 0
	.section	.AMDGPU.csdata,"",@progbits
; Kernel info:
; codeLenInByte = 1404
; TotalNumSgprs: 15
; NumVgprs: 6
; ScratchSize: 0
; MemoryBound: 0
; FloatMode: 240
; IeeeMode: 1
; LDSByteSize: 2048 bytes/workgroup (compile time only)
; SGPRBlocks: 0
; VGPRBlocks: 0
; NumSGPRsForWavesPerEU: 15
; NumVGPRsForWavesPerEU: 6
; NamedBarCnt: 0
; Occupancy: 16
; WaveLimiterHint : 0
; COMPUTE_PGM_RSRC2:SCRATCH_EN: 0
; COMPUTE_PGM_RSRC2:USER_SGPR: 2
; COMPUTE_PGM_RSRC2:TRAP_HANDLER: 0
; COMPUTE_PGM_RSRC2:TGID_X_EN: 1
; COMPUTE_PGM_RSRC2:TGID_Y_EN: 0
; COMPUTE_PGM_RSRC2:TGID_Z_EN: 0
; COMPUTE_PGM_RSRC2:TIDIG_COMP_CNT: 0
	.section	.text._Z27flag_heads_and_tails_kernelIccN10test_utils10less_equalELj1024ELj1EEvPT_PxS4_,"axG",@progbits,_Z27flag_heads_and_tails_kernelIccN10test_utils10less_equalELj1024ELj1EEvPT_PxS4_,comdat
	.protected	_Z27flag_heads_and_tails_kernelIccN10test_utils10less_equalELj1024ELj1EEvPT_PxS4_ ; -- Begin function _Z27flag_heads_and_tails_kernelIccN10test_utils10less_equalELj1024ELj1EEvPT_PxS4_
	.globl	_Z27flag_heads_and_tails_kernelIccN10test_utils10less_equalELj1024ELj1EEvPT_PxS4_
	.p2align	8
	.type	_Z27flag_heads_and_tails_kernelIccN10test_utils10less_equalELj1024ELj1EEvPT_PxS4_,@function
_Z27flag_heads_and_tails_kernelIccN10test_utils10less_equalELj1024ELj1EEvPT_PxS4_: ; @_Z27flag_heads_and_tails_kernelIccN10test_utils10less_equalELj1024ELj1EEvPT_PxS4_
; %bb.0:
	s_load_b128 s[4:7], s[0:1], 0x0
	s_bfe_u32 s2, ttmp6, 0x4000c
	s_and_b32 s3, ttmp6, 15
	s_add_co_i32 s2, s2, 1
	s_getreg_b32 s8, hwreg(HW_REG_IB_STS2, 6, 4)
	s_mul_i32 s2, ttmp9, s2
	s_mov_b32 s9, 0
	s_add_co_i32 s3, s3, s2
	s_cmp_eq_u32 s8, 0
	s_cselect_b32 s10, ttmp9, s3
	s_load_b64 s[2:3], s[0:1], 0x10
	s_lshl_b32 s8, s10, 10
	s_wait_kmcnt 0x0
	s_add_nc_u64 s[0:1], s[4:5], s[8:9]
	global_load_i8 v1, v0, s[0:1]
	s_wait_xcnt 0x0
	s_and_b32 s1, s10, 3
	s_delay_alu instid0(SALU_CYCLE_1)
	s_cmp_lt_i32 s1, 2
	s_cbranch_scc1 .LBB66_8
; %bb.1:
	s_cmp_gt_i32 s1, 2
	s_cbranch_scc0 .LBB66_9
; %bb.2:
	v_mov_b32_e32 v2, 1
	s_mov_b32 s0, exec_lo
	s_wait_loadcnt 0x0
	ds_store_b8 v0, v1
	s_wait_dscnt 0x0
	s_barrier_signal -1
	s_barrier_wait -1
	v_cmpx_ne_u32_e32 0, v0
	s_cbranch_execz .LBB66_4
; %bb.3:
	v_add_nc_u32_e32 v2, -1, v0
	ds_load_i8 v2, v2
	s_wait_dscnt 0x0
	v_cmp_le_i16_e32 vcc_lo, v1, v2
	v_cndmask_b32_e64 v2, 0, 1, vcc_lo
.LBB66_4:
	s_or_b32 exec_lo, exec_lo, s0
	s_mov_b32 s10, -1
	s_mov_b32 s0, exec_lo
	ds_store_b8 v0, v1 offset:1024
	s_wait_dscnt 0x0
	s_barrier_signal -1
	s_barrier_wait -1
	v_cmpx_ne_u32_e32 0x3ff, v0
	s_cbranch_execz .LBB66_6
; %bb.5:
	ds_load_i8 v3, v0 offset:1025
	s_wait_dscnt 0x0
	v_cmp_le_i16_e32 vcc_lo, v3, v1
	s_or_not1_b32 s10, vcc_lo, exec_lo
.LBB66_6:
	s_or_b32 exec_lo, exec_lo, s0
.LBB66_7:
	s_cbranch_execz .LBB66_15
	s_branch .LBB66_27
.LBB66_8:
                                        ; implicit-def: $sgpr10
                                        ; implicit-def: $vgpr2
	s_branch .LBB66_15
.LBB66_9:
                                        ; implicit-def: $sgpr10
                                        ; implicit-def: $vgpr2
	s_cbranch_execz .LBB66_7
; %bb.10:
	s_add_co_i32 s0, s8, -1
	s_mov_b32 s10, -1
	v_mov_b32_e32 v2, s0
	s_mov_b32 s0, exec_lo
	s_wait_loadcnt 0x0
	ds_store_b8 v0, v1
	global_load_u8 v2, v2, s[4:5]
	s_wait_loadcnt_dscnt 0x0
	s_barrier_signal -1
	s_barrier_wait -1
	v_cmpx_ne_u32_e32 0, v0
; %bb.11:
	v_add_nc_u32_e32 v2, -1, v0
	ds_load_u8 v2, v2
; %bb.12:
	s_or_b32 exec_lo, exec_lo, s0
	s_wait_dscnt 0x0
	v_bfe_i32 v2, v2, 0, 8
	s_mov_b32 s11, exec_lo
	ds_store_b8 v0, v1 offset:1024
	s_wait_dscnt 0x0
	s_barrier_signal -1
	v_cmp_le_i16_e32 vcc_lo, v1, v2
	s_barrier_wait -1
	v_cmpx_ne_u32_e32 0x3ff, v0
	s_cbranch_execz .LBB66_14
; %bb.13:
	ds_load_i8 v2, v0 offset:1025
	s_wait_dscnt 0x0
	v_cmp_le_i16_e64 s0, v2, v1
	s_or_not1_b32 s10, s0, exec_lo
.LBB66_14:
	s_or_b32 exec_lo, exec_lo, s11
	v_cndmask_b32_e64 v2, 0, 1, vcc_lo
	s_cbranch_execnz .LBB66_27
.LBB66_15:
	s_cmp_eq_u32 s1, 1
	v_cmp_ne_u32_e32 vcc_lo, 0, v0
	s_cbranch_scc1 .LBB66_21
; %bb.16:
	s_add_co_i32 s0, s8, 0x400
	s_wait_loadcnt 0x0
	ds_store_b8 v0, v1
	v_mov_b32_e32 v2, s0
	global_load_u8 v3, v2, s[4:5]
	s_wait_xcnt 0x0
	v_mov_b32_e32 v2, 1
	s_wait_loadcnt_dscnt 0x0
	s_barrier_signal -1
	s_barrier_wait -1
	s_and_saveexec_b32 s0, vcc_lo
	s_cbranch_execz .LBB66_18
; %bb.17:
	v_add_nc_u32_e32 v2, -1, v0
	ds_load_i8 v2, v2
	s_wait_dscnt 0x0
	v_cmp_le_i16_e32 vcc_lo, v1, v2
	v_cndmask_b32_e64 v2, 0, 1, vcc_lo
.LBB66_18:
	s_or_b32 exec_lo, exec_lo, s0
	s_delay_alu instid0(SALU_CYCLE_1)
	s_mov_b32 s0, exec_lo
	ds_store_b8 v0, v1 offset:1024
	s_wait_dscnt 0x0
	s_barrier_signal -1
	s_barrier_wait -1
	v_cmpx_ne_u32_e32 0x3ff, v0
; %bb.19:
	ds_load_u8 v3, v0 offset:1025
; %bb.20:
	s_or_b32 exec_lo, exec_lo, s0
	s_wait_dscnt 0x0
	v_bfe_i32 v3, v3, 0, 8
	s_delay_alu instid0(VALU_DEP_1)
	v_cmp_le_i16_e64 s10, v3, v1
	s_branch .LBB66_27
.LBB66_21:
                                        ; implicit-def: $sgpr10
                                        ; implicit-def: $vgpr2
	s_cbranch_execz .LBB66_27
; %bb.22:
	s_add_co_i32 s0, s8, -1
	s_add_co_i32 s1, s8, 0x400
	s_delay_alu instid0(SALU_CYCLE_1)
	v_dual_mov_b32 v4, s0 :: v_dual_mov_b32 v5, s1
	s_mov_b32 s0, exec_lo
	s_clause 0x1
	global_load_u8 v3, v4, s[4:5]
	global_load_u8 v2, v5, s[4:5]
	s_wait_loadcnt 0x2
	ds_store_b8 v0, v1
	s_wait_loadcnt_dscnt 0x0
	s_barrier_signal -1
	s_barrier_wait -1
	v_cmpx_ne_u32_e32 0, v0
; %bb.23:
	v_add_nc_u32_e32 v3, -1, v0
	ds_load_u8 v3, v3
; %bb.24:
	s_or_b32 exec_lo, exec_lo, s0
	s_delay_alu instid0(SALU_CYCLE_1)
	s_mov_b32 s0, exec_lo
	ds_store_b8 v0, v1 offset:1024
	s_wait_dscnt 0x0
	s_barrier_signal -1
	s_barrier_wait -1
	v_cmpx_ne_u32_e32 0x3ff, v0
; %bb.25:
	ds_load_u8 v2, v0 offset:1025
; %bb.26:
	s_or_b32 exec_lo, exec_lo, s0
	v_bfe_i32 v3, v3, 0, 8
	s_wait_dscnt 0x0
	v_bfe_i32 v4, v2, 0, 8
	s_delay_alu instid0(VALU_DEP_2) | instskip(NEXT) | instid1(VALU_DEP_2)
	v_cmp_le_i16_e32 vcc_lo, v1, v3
	v_cmp_le_i16_e64 s10, v4, v1
	v_cndmask_b32_e64 v2, 0, 1, vcc_lo
.LBB66_27:
	s_mov_b32 s4, 0
	s_delay_alu instid0(VALU_DEP_1)
	v_and_b32_e32 v2, 0xff, v2
	v_dual_mov_b32 v3, 0 :: v_dual_mov_b32 v5, s4
	s_lshl_b64 s[0:1], s[8:9], 3
	v_cndmask_b32_e64 v4, 0, 1, s10
	s_add_nc_u64 s[4:5], s[6:7], s[0:1]
	s_add_nc_u64 s[0:1], s[2:3], s[0:1]
	s_clause 0x1
	global_store_b64 v0, v[2:3], s[4:5] scale_offset
	global_store_b64 v0, v[4:5], s[0:1] scale_offset
	s_endpgm
	.section	.rodata,"a",@progbits
	.p2align	6, 0x0
	.amdhsa_kernel _Z27flag_heads_and_tails_kernelIccN10test_utils10less_equalELj1024ELj1EEvPT_PxS4_
		.amdhsa_group_segment_fixed_size 2048
		.amdhsa_private_segment_fixed_size 0
		.amdhsa_kernarg_size 24
		.amdhsa_user_sgpr_count 2
		.amdhsa_user_sgpr_dispatch_ptr 0
		.amdhsa_user_sgpr_queue_ptr 0
		.amdhsa_user_sgpr_kernarg_segment_ptr 1
		.amdhsa_user_sgpr_dispatch_id 0
		.amdhsa_user_sgpr_kernarg_preload_length 0
		.amdhsa_user_sgpr_kernarg_preload_offset 0
		.amdhsa_user_sgpr_private_segment_size 0
		.amdhsa_wavefront_size32 1
		.amdhsa_uses_dynamic_stack 0
		.amdhsa_enable_private_segment 0
		.amdhsa_system_sgpr_workgroup_id_x 1
		.amdhsa_system_sgpr_workgroup_id_y 0
		.amdhsa_system_sgpr_workgroup_id_z 0
		.amdhsa_system_sgpr_workgroup_info 0
		.amdhsa_system_vgpr_workitem_id 0
		.amdhsa_next_free_vgpr 6
		.amdhsa_next_free_sgpr 12
		.amdhsa_named_barrier_count 0
		.amdhsa_reserve_vcc 1
		.amdhsa_float_round_mode_32 0
		.amdhsa_float_round_mode_16_64 0
		.amdhsa_float_denorm_mode_32 3
		.amdhsa_float_denorm_mode_16_64 3
		.amdhsa_fp16_overflow 0
		.amdhsa_memory_ordered 1
		.amdhsa_forward_progress 1
		.amdhsa_inst_pref_size 7
		.amdhsa_round_robin_scheduling 0
		.amdhsa_exception_fp_ieee_invalid_op 0
		.amdhsa_exception_fp_denorm_src 0
		.amdhsa_exception_fp_ieee_div_zero 0
		.amdhsa_exception_fp_ieee_overflow 0
		.amdhsa_exception_fp_ieee_underflow 0
		.amdhsa_exception_fp_ieee_inexact 0
		.amdhsa_exception_int_div_zero 0
	.end_amdhsa_kernel
	.section	.text._Z27flag_heads_and_tails_kernelIccN10test_utils10less_equalELj1024ELj1EEvPT_PxS4_,"axG",@progbits,_Z27flag_heads_and_tails_kernelIccN10test_utils10less_equalELj1024ELj1EEvPT_PxS4_,comdat
.Lfunc_end66:
	.size	_Z27flag_heads_and_tails_kernelIccN10test_utils10less_equalELj1024ELj1EEvPT_PxS4_, .Lfunc_end66-_Z27flag_heads_and_tails_kernelIccN10test_utils10less_equalELj1024ELj1EEvPT_PxS4_
                                        ; -- End function
	.set _Z27flag_heads_and_tails_kernelIccN10test_utils10less_equalELj1024ELj1EEvPT_PxS4_.num_vgpr, 6
	.set _Z27flag_heads_and_tails_kernelIccN10test_utils10less_equalELj1024ELj1EEvPT_PxS4_.num_agpr, 0
	.set _Z27flag_heads_and_tails_kernelIccN10test_utils10less_equalELj1024ELj1EEvPT_PxS4_.numbered_sgpr, 12
	.set _Z27flag_heads_and_tails_kernelIccN10test_utils10less_equalELj1024ELj1EEvPT_PxS4_.num_named_barrier, 0
	.set _Z27flag_heads_and_tails_kernelIccN10test_utils10less_equalELj1024ELj1EEvPT_PxS4_.private_seg_size, 0
	.set _Z27flag_heads_and_tails_kernelIccN10test_utils10less_equalELj1024ELj1EEvPT_PxS4_.uses_vcc, 1
	.set _Z27flag_heads_and_tails_kernelIccN10test_utils10less_equalELj1024ELj1EEvPT_PxS4_.uses_flat_scratch, 0
	.set _Z27flag_heads_and_tails_kernelIccN10test_utils10less_equalELj1024ELj1EEvPT_PxS4_.has_dyn_sized_stack, 0
	.set _Z27flag_heads_and_tails_kernelIccN10test_utils10less_equalELj1024ELj1EEvPT_PxS4_.has_recursion, 0
	.set _Z27flag_heads_and_tails_kernelIccN10test_utils10less_equalELj1024ELj1EEvPT_PxS4_.has_indirect_call, 0
	.section	.AMDGPU.csdata,"",@progbits
; Kernel info:
; codeLenInByte = 884
; TotalNumSgprs: 14
; NumVgprs: 6
; ScratchSize: 0
; MemoryBound: 0
; FloatMode: 240
; IeeeMode: 1
; LDSByteSize: 2048 bytes/workgroup (compile time only)
; SGPRBlocks: 0
; VGPRBlocks: 0
; NumSGPRsForWavesPerEU: 14
; NumVGPRsForWavesPerEU: 6
; NamedBarCnt: 0
; Occupancy: 16
; WaveLimiterHint : 0
; COMPUTE_PGM_RSRC2:SCRATCH_EN: 0
; COMPUTE_PGM_RSRC2:USER_SGPR: 2
; COMPUTE_PGM_RSRC2:TRAP_HANDLER: 0
; COMPUTE_PGM_RSRC2:TGID_X_EN: 1
; COMPUTE_PGM_RSRC2:TGID_Y_EN: 0
; COMPUTE_PGM_RSRC2:TGID_Z_EN: 0
; COMPUTE_PGM_RSRC2:TIDIG_COMP_CNT: 0
	.section	.text._Z27flag_heads_and_tails_kernelI12hip_bfloat16iN10test_utils4lessELj256ELj1EEvPT_PxS5_,"axG",@progbits,_Z27flag_heads_and_tails_kernelI12hip_bfloat16iN10test_utils4lessELj256ELj1EEvPT_PxS5_,comdat
	.protected	_Z27flag_heads_and_tails_kernelI12hip_bfloat16iN10test_utils4lessELj256ELj1EEvPT_PxS5_ ; -- Begin function _Z27flag_heads_and_tails_kernelI12hip_bfloat16iN10test_utils4lessELj256ELj1EEvPT_PxS5_
	.globl	_Z27flag_heads_and_tails_kernelI12hip_bfloat16iN10test_utils4lessELj256ELj1EEvPT_PxS5_
	.p2align	8
	.type	_Z27flag_heads_and_tails_kernelI12hip_bfloat16iN10test_utils4lessELj256ELj1EEvPT_PxS5_,@function
_Z27flag_heads_and_tails_kernelI12hip_bfloat16iN10test_utils4lessELj256ELj1EEvPT_PxS5_: ; @_Z27flag_heads_and_tails_kernelI12hip_bfloat16iN10test_utils4lessELj256ELj1EEvPT_PxS5_
; %bb.0:
	s_load_b128 s[4:7], s[0:1], 0x0
	s_bfe_u32 s2, ttmp6, 0x4000c
	s_and_b32 s3, ttmp6, 15
	s_add_co_i32 s2, s2, 1
	s_getreg_b32 s8, hwreg(HW_REG_IB_STS2, 6, 4)
	s_mul_i32 s2, ttmp9, s2
	s_mov_b32 s9, 0
	s_add_co_i32 s3, s3, s2
	s_cmp_eq_u32 s8, 0
	s_cselect_b32 s12, ttmp9, s3
	s_load_b64 s[2:3], s[0:1], 0x10
	s_lshl_b32 s8, s12, 8
	s_delay_alu instid0(SALU_CYCLE_1)
	s_lshl_b64 s[10:11], s[8:9], 1
	s_wait_kmcnt 0x0
	s_add_nc_u64 s[0:1], s[4:5], s[10:11]
	global_load_u16 v1, v0, s[0:1] scale_offset
	s_wait_xcnt 0x0
	s_and_b32 s1, s12, 3
	s_delay_alu instid0(SALU_CYCLE_1)
	s_cmp_lt_i32 s1, 2
	s_cbranch_scc1 .LBB67_8
; %bb.1:
	s_cmp_gt_i32 s1, 2
	s_cbranch_scc0 .LBB67_9
; %bb.2:
	v_dual_mov_b32 v2, 1 :: v_dual_lshlrev_b32 v3, 1, v0
	s_mov_b32 s0, exec_lo
	s_wait_loadcnt 0x0
	ds_store_b16 v3, v1
	s_wait_dscnt 0x0
	s_barrier_signal -1
	s_barrier_wait -1
	v_cmpx_ne_u32_e32 0, v0
	s_cbranch_execz .LBB67_4
; %bb.3:
	v_dual_add_nc_u32 v2, -2, v3 :: v_dual_lshlrev_b32 v4, 16, v1
	ds_load_u16 v2, v2
	s_wait_dscnt 0x0
	v_lshlrev_b32_e32 v2, 16, v2
	s_delay_alu instid0(VALU_DEP_1)
	v_cmp_lt_f32_e32 vcc_lo, v4, v2
	v_cndmask_b32_e64 v2, 0, 1, vcc_lo
.LBB67_4:
	s_or_b32 exec_lo, exec_lo, s0
	s_mov_b32 s10, -1
	s_mov_b32 s0, exec_lo
	ds_store_b16 v3, v1 offset:512
	s_wait_dscnt 0x0
	s_barrier_signal -1
	s_barrier_wait -1
	v_cmpx_ne_u32_e32 0xff, v0
	s_cbranch_execz .LBB67_6
; %bb.5:
	ds_load_u16 v3, v3 offset:514
	s_wait_dscnt 0x0
	v_dual_lshlrev_b32 v4, 16, v1 :: v_dual_lshlrev_b32 v3, 16, v3
	s_delay_alu instid0(VALU_DEP_1)
	v_cmp_lt_f32_e32 vcc_lo, v3, v4
	s_or_not1_b32 s10, vcc_lo, exec_lo
.LBB67_6:
	s_or_b32 exec_lo, exec_lo, s0
.LBB67_7:
	s_cbranch_execz .LBB67_15
	s_branch .LBB67_27
.LBB67_8:
                                        ; implicit-def: $sgpr10
                                        ; implicit-def: $vgpr2
	s_branch .LBB67_15
.LBB67_9:
                                        ; implicit-def: $sgpr10
                                        ; implicit-def: $vgpr2
	s_cbranch_execz .LBB67_7
; %bb.10:
	s_add_co_i32 s0, s8, -1
	s_mov_b32 s10, -1
	v_mov_b32_e32 v2, s0
	s_mov_b32 s0, exec_lo
	global_load_u16 v3, v2, s[4:5] scale_offset
	s_wait_xcnt 0x0
	v_lshlrev_b32_e32 v2, 1, v0
	s_wait_loadcnt 0x1
	ds_store_b16 v2, v1
	s_wait_loadcnt_dscnt 0x0
	s_barrier_signal -1
	s_barrier_wait -1
	v_cmpx_ne_u32_e32 0, v0
; %bb.11:
	v_add_nc_u32_e32 v3, -2, v2
	ds_load_u16 v3, v3
; %bb.12:
	s_or_b32 exec_lo, exec_lo, s0
	s_wait_dscnt 0x0
	v_dual_lshlrev_b32 v4, 16, v1 :: v_dual_lshlrev_b32 v3, 16, v3
	s_mov_b32 s11, exec_lo
	ds_store_b16 v2, v1 offset:512
	s_wait_dscnt 0x0
	s_barrier_signal -1
	v_cmp_lt_f32_e32 vcc_lo, v4, v3
	s_barrier_wait -1
	v_cmpx_ne_u32_e32 0xff, v0
	s_cbranch_execz .LBB67_14
; %bb.13:
	ds_load_u16 v2, v2 offset:514
	s_wait_dscnt 0x0
	v_lshlrev_b32_e32 v2, 16, v2
	s_delay_alu instid0(VALU_DEP_1)
	v_cmp_gt_f32_e64 s0, v4, v2
	s_or_not1_b32 s10, s0, exec_lo
.LBB67_14:
	s_or_b32 exec_lo, exec_lo, s11
	v_cndmask_b32_e64 v2, 0, 1, vcc_lo
	s_cbranch_execnz .LBB67_27
.LBB67_15:
	v_lshlrev_b32_e32 v3, 1, v0
	s_cmp_eq_u32 s1, 1
	v_cmp_ne_u32_e32 vcc_lo, 0, v0
	s_cbranch_scc1 .LBB67_21
; %bb.16:
	s_add_co_i32 s0, s8, 0x100
	s_wait_loadcnt 0x0
	ds_store_b16 v3, v1
	v_mov_b32_e32 v2, s0
	global_load_u16 v4, v2, s[4:5] scale_offset
	s_wait_xcnt 0x0
	v_mov_b32_e32 v2, 1
	s_wait_loadcnt_dscnt 0x0
	s_barrier_signal -1
	s_barrier_wait -1
	s_and_saveexec_b32 s0, vcc_lo
	s_cbranch_execz .LBB67_18
; %bb.17:
	v_dual_add_nc_u32 v2, -2, v3 :: v_dual_lshlrev_b32 v5, 16, v1
	ds_load_u16 v2, v2
	s_wait_dscnt 0x0
	v_lshlrev_b32_e32 v2, 16, v2
	s_delay_alu instid0(VALU_DEP_1)
	v_cmp_lt_f32_e32 vcc_lo, v5, v2
	v_cndmask_b32_e64 v2, 0, 1, vcc_lo
.LBB67_18:
	s_or_b32 exec_lo, exec_lo, s0
	s_delay_alu instid0(SALU_CYCLE_1)
	s_mov_b32 s0, exec_lo
	ds_store_b16 v3, v1 offset:512
	s_wait_dscnt 0x0
	s_barrier_signal -1
	s_barrier_wait -1
	v_cmpx_ne_u32_e32 0xff, v0
; %bb.19:
	ds_load_u16 v4, v3 offset:514
; %bb.20:
	s_or_b32 exec_lo, exec_lo, s0
	s_wait_dscnt 0x0
	v_dual_lshlrev_b32 v5, 16, v1 :: v_dual_lshlrev_b32 v4, 16, v4
	s_delay_alu instid0(VALU_DEP_1)
	v_cmp_lt_f32_e64 s10, v4, v5
	s_branch .LBB67_27
.LBB67_21:
                                        ; implicit-def: $sgpr10
                                        ; implicit-def: $vgpr2
	s_cbranch_execz .LBB67_27
; %bb.22:
	s_add_co_i32 s0, s8, -1
	s_add_co_i32 s1, s8, 0x100
	s_delay_alu instid0(SALU_CYCLE_1)
	v_dual_mov_b32 v5, s0 :: v_dual_mov_b32 v6, s1
	s_mov_b32 s0, exec_lo
	s_clause 0x1
	global_load_u16 v4, v5, s[4:5] scale_offset
	global_load_u16 v2, v6, s[4:5] scale_offset
	s_wait_loadcnt 0x2
	ds_store_b16 v3, v1
	s_wait_loadcnt_dscnt 0x0
	s_barrier_signal -1
	s_barrier_wait -1
	v_cmpx_ne_u32_e32 0, v0
; %bb.23:
	v_add_nc_u32_e32 v4, -2, v3
	ds_load_u16 v4, v4
; %bb.24:
	s_or_b32 exec_lo, exec_lo, s0
	s_delay_alu instid0(SALU_CYCLE_1)
	s_mov_b32 s0, exec_lo
	ds_store_b16 v3, v1 offset:512
	s_wait_dscnt 0x0
	s_barrier_signal -1
	s_barrier_wait -1
	v_cmpx_ne_u32_e32 0xff, v0
; %bb.25:
	ds_load_u16 v2, v3 offset:514
; %bb.26:
	s_or_b32 exec_lo, exec_lo, s0
	v_dual_lshlrev_b32 v3, 16, v4 :: v_dual_lshlrev_b32 v1, 16, v1
	s_wait_dscnt 0x0
	v_lshlrev_b32_e32 v4, 16, v2
	s_delay_alu instid0(VALU_DEP_2) | instskip(NEXT) | instid1(VALU_DEP_2)
	v_cmp_lt_f32_e32 vcc_lo, v1, v3
	v_cmp_gt_f32_e64 s10, v1, v4
	v_cndmask_b32_e64 v2, 0, 1, vcc_lo
.LBB67_27:
	s_mov_b32 s4, 0
	s_delay_alu instid0(SALU_CYCLE_1)
	v_dual_mov_b32 v3, 0 :: v_dual_mov_b32 v5, s4
	s_lshl_b64 s[0:1], s[8:9], 3
	v_cndmask_b32_e64 v4, 0, 1, s10
	s_add_nc_u64 s[4:5], s[6:7], s[0:1]
	s_add_nc_u64 s[0:1], s[2:3], s[0:1]
	s_clause 0x1
	global_store_b64 v0, v[2:3], s[4:5] scale_offset
	global_store_b64 v0, v[4:5], s[0:1] scale_offset
	s_endpgm
	.section	.rodata,"a",@progbits
	.p2align	6, 0x0
	.amdhsa_kernel _Z27flag_heads_and_tails_kernelI12hip_bfloat16iN10test_utils4lessELj256ELj1EEvPT_PxS5_
		.amdhsa_group_segment_fixed_size 1024
		.amdhsa_private_segment_fixed_size 0
		.amdhsa_kernarg_size 24
		.amdhsa_user_sgpr_count 2
		.amdhsa_user_sgpr_dispatch_ptr 0
		.amdhsa_user_sgpr_queue_ptr 0
		.amdhsa_user_sgpr_kernarg_segment_ptr 1
		.amdhsa_user_sgpr_dispatch_id 0
		.amdhsa_user_sgpr_kernarg_preload_length 0
		.amdhsa_user_sgpr_kernarg_preload_offset 0
		.amdhsa_user_sgpr_private_segment_size 0
		.amdhsa_wavefront_size32 1
		.amdhsa_uses_dynamic_stack 0
		.amdhsa_enable_private_segment 0
		.amdhsa_system_sgpr_workgroup_id_x 1
		.amdhsa_system_sgpr_workgroup_id_y 0
		.amdhsa_system_sgpr_workgroup_id_z 0
		.amdhsa_system_sgpr_workgroup_info 0
		.amdhsa_system_vgpr_workitem_id 0
		.amdhsa_next_free_vgpr 7
		.amdhsa_next_free_sgpr 13
		.amdhsa_named_barrier_count 0
		.amdhsa_reserve_vcc 1
		.amdhsa_float_round_mode_32 0
		.amdhsa_float_round_mode_16_64 0
		.amdhsa_float_denorm_mode_32 3
		.amdhsa_float_denorm_mode_16_64 3
		.amdhsa_fp16_overflow 0
		.amdhsa_memory_ordered 1
		.amdhsa_forward_progress 1
		.amdhsa_inst_pref_size 8
		.amdhsa_round_robin_scheduling 0
		.amdhsa_exception_fp_ieee_invalid_op 0
		.amdhsa_exception_fp_denorm_src 0
		.amdhsa_exception_fp_ieee_div_zero 0
		.amdhsa_exception_fp_ieee_overflow 0
		.amdhsa_exception_fp_ieee_underflow 0
		.amdhsa_exception_fp_ieee_inexact 0
		.amdhsa_exception_int_div_zero 0
	.end_amdhsa_kernel
	.section	.text._Z27flag_heads_and_tails_kernelI12hip_bfloat16iN10test_utils4lessELj256ELj1EEvPT_PxS5_,"axG",@progbits,_Z27flag_heads_and_tails_kernelI12hip_bfloat16iN10test_utils4lessELj256ELj1EEvPT_PxS5_,comdat
.Lfunc_end67:
	.size	_Z27flag_heads_and_tails_kernelI12hip_bfloat16iN10test_utils4lessELj256ELj1EEvPT_PxS5_, .Lfunc_end67-_Z27flag_heads_and_tails_kernelI12hip_bfloat16iN10test_utils4lessELj256ELj1EEvPT_PxS5_
                                        ; -- End function
	.set _Z27flag_heads_and_tails_kernelI12hip_bfloat16iN10test_utils4lessELj256ELj1EEvPT_PxS5_.num_vgpr, 7
	.set _Z27flag_heads_and_tails_kernelI12hip_bfloat16iN10test_utils4lessELj256ELj1EEvPT_PxS5_.num_agpr, 0
	.set _Z27flag_heads_and_tails_kernelI12hip_bfloat16iN10test_utils4lessELj256ELj1EEvPT_PxS5_.numbered_sgpr, 13
	.set _Z27flag_heads_and_tails_kernelI12hip_bfloat16iN10test_utils4lessELj256ELj1EEvPT_PxS5_.num_named_barrier, 0
	.set _Z27flag_heads_and_tails_kernelI12hip_bfloat16iN10test_utils4lessELj256ELj1EEvPT_PxS5_.private_seg_size, 0
	.set _Z27flag_heads_and_tails_kernelI12hip_bfloat16iN10test_utils4lessELj256ELj1EEvPT_PxS5_.uses_vcc, 1
	.set _Z27flag_heads_and_tails_kernelI12hip_bfloat16iN10test_utils4lessELj256ELj1EEvPT_PxS5_.uses_flat_scratch, 0
	.set _Z27flag_heads_and_tails_kernelI12hip_bfloat16iN10test_utils4lessELj256ELj1EEvPT_PxS5_.has_dyn_sized_stack, 0
	.set _Z27flag_heads_and_tails_kernelI12hip_bfloat16iN10test_utils4lessELj256ELj1EEvPT_PxS5_.has_recursion, 0
	.set _Z27flag_heads_and_tails_kernelI12hip_bfloat16iN10test_utils4lessELj256ELj1EEvPT_PxS5_.has_indirect_call, 0
	.section	.AMDGPU.csdata,"",@progbits
; Kernel info:
; codeLenInByte = 964
; TotalNumSgprs: 15
; NumVgprs: 7
; ScratchSize: 0
; MemoryBound: 0
; FloatMode: 240
; IeeeMode: 1
; LDSByteSize: 1024 bytes/workgroup (compile time only)
; SGPRBlocks: 0
; VGPRBlocks: 0
; NumSGPRsForWavesPerEU: 15
; NumVGPRsForWavesPerEU: 7
; NamedBarCnt: 0
; Occupancy: 16
; WaveLimiterHint : 0
; COMPUTE_PGM_RSRC2:SCRATCH_EN: 0
; COMPUTE_PGM_RSRC2:USER_SGPR: 2
; COMPUTE_PGM_RSRC2:TRAP_HANDLER: 0
; COMPUTE_PGM_RSRC2:TGID_X_EN: 1
; COMPUTE_PGM_RSRC2:TGID_Y_EN: 0
; COMPUTE_PGM_RSRC2:TGID_Z_EN: 0
; COMPUTE_PGM_RSRC2:TIDIG_COMP_CNT: 0
	.section	.text._Z27flag_heads_and_tails_kernelI6__halfiN10test_utils4lessELj256ELj1EEvPT_PxS5_,"axG",@progbits,_Z27flag_heads_and_tails_kernelI6__halfiN10test_utils4lessELj256ELj1EEvPT_PxS5_,comdat
	.protected	_Z27flag_heads_and_tails_kernelI6__halfiN10test_utils4lessELj256ELj1EEvPT_PxS5_ ; -- Begin function _Z27flag_heads_and_tails_kernelI6__halfiN10test_utils4lessELj256ELj1EEvPT_PxS5_
	.globl	_Z27flag_heads_and_tails_kernelI6__halfiN10test_utils4lessELj256ELj1EEvPT_PxS5_
	.p2align	8
	.type	_Z27flag_heads_and_tails_kernelI6__halfiN10test_utils4lessELj256ELj1EEvPT_PxS5_,@function
_Z27flag_heads_and_tails_kernelI6__halfiN10test_utils4lessELj256ELj1EEvPT_PxS5_: ; @_Z27flag_heads_and_tails_kernelI6__halfiN10test_utils4lessELj256ELj1EEvPT_PxS5_
; %bb.0:
	s_load_b128 s[4:7], s[0:1], 0x0
	s_bfe_u32 s2, ttmp6, 0x4000c
	s_and_b32 s3, ttmp6, 15
	s_add_co_i32 s2, s2, 1
	s_getreg_b32 s8, hwreg(HW_REG_IB_STS2, 6, 4)
	s_mul_i32 s2, ttmp9, s2
	s_mov_b32 s9, 0
	s_add_co_i32 s3, s3, s2
	s_cmp_eq_u32 s8, 0
	s_cselect_b32 s12, ttmp9, s3
	s_load_b64 s[2:3], s[0:1], 0x10
	s_lshl_b32 s8, s12, 8
	s_delay_alu instid0(SALU_CYCLE_1)
	s_lshl_b64 s[10:11], s[8:9], 1
	s_wait_kmcnt 0x0
	s_add_nc_u64 s[0:1], s[4:5], s[10:11]
	global_load_u16 v1, v0, s[0:1] scale_offset
	s_wait_xcnt 0x0
	s_and_b32 s1, s12, 3
	s_delay_alu instid0(SALU_CYCLE_1)
	s_cmp_lt_i32 s1, 2
	s_cbranch_scc1 .LBB68_8
; %bb.1:
	s_cmp_gt_i32 s1, 2
	s_cbranch_scc0 .LBB68_9
; %bb.2:
	v_dual_mov_b32 v2, 1 :: v_dual_lshlrev_b32 v3, 1, v0
	s_mov_b32 s0, exec_lo
	s_wait_loadcnt 0x0
	ds_store_b16 v3, v1
	s_wait_dscnt 0x0
	s_barrier_signal -1
	s_barrier_wait -1
	v_cmpx_ne_u32_e32 0, v0
	s_cbranch_execz .LBB68_4
; %bb.3:
	v_add_nc_u32_e32 v2, -2, v3
	ds_load_u16 v2, v2
	s_wait_dscnt 0x0
	v_cmp_gt_f16_e32 vcc_lo, v2, v1
	v_cndmask_b32_e64 v2, 0, 1, vcc_lo
.LBB68_4:
	s_or_b32 exec_lo, exec_lo, s0
	s_mov_b32 s10, -1
	s_mov_b32 s0, exec_lo
	ds_store_b16 v3, v1 offset:512
	s_wait_dscnt 0x0
	s_barrier_signal -1
	s_barrier_wait -1
	v_cmpx_ne_u32_e32 0xff, v0
	s_cbranch_execz .LBB68_6
; %bb.5:
	ds_load_u16 v3, v3 offset:514
	s_wait_dscnt 0x0
	v_cmp_lt_f16_e32 vcc_lo, v3, v1
	s_or_not1_b32 s10, vcc_lo, exec_lo
.LBB68_6:
	s_or_b32 exec_lo, exec_lo, s0
.LBB68_7:
	s_cbranch_execz .LBB68_15
	s_branch .LBB68_27
.LBB68_8:
                                        ; implicit-def: $sgpr10
                                        ; implicit-def: $vgpr2
	s_branch .LBB68_15
.LBB68_9:
                                        ; implicit-def: $sgpr10
                                        ; implicit-def: $vgpr2
	s_cbranch_execz .LBB68_7
; %bb.10:
	s_add_co_i32 s0, s8, -1
	s_mov_b32 s10, -1
	v_mov_b32_e32 v2, s0
	s_mov_b32 s0, exec_lo
	global_load_u16 v3, v2, s[4:5] scale_offset
	s_wait_xcnt 0x0
	v_lshlrev_b32_e32 v2, 1, v0
	s_wait_loadcnt 0x1
	ds_store_b16 v2, v1
	s_wait_loadcnt_dscnt 0x0
	s_barrier_signal -1
	s_barrier_wait -1
	v_cmpx_ne_u32_e32 0, v0
; %bb.11:
	v_add_nc_u32_e32 v3, -2, v2
	ds_load_u16 v3, v3
; %bb.12:
	s_or_b32 exec_lo, exec_lo, s0
	s_delay_alu instid0(SALU_CYCLE_1)
	s_mov_b32 s11, exec_lo
	s_wait_dscnt 0x0
	v_cmp_gt_f16_e32 vcc_lo, v3, v1
	ds_store_b16 v2, v1 offset:512
	s_wait_dscnt 0x0
	s_barrier_signal -1
	s_barrier_wait -1
	v_cmpx_ne_u32_e32 0xff, v0
	s_cbranch_execz .LBB68_14
; %bb.13:
	ds_load_u16 v2, v2 offset:514
	s_wait_dscnt 0x0
	v_cmp_lt_f16_e64 s0, v2, v1
	s_or_not1_b32 s10, s0, exec_lo
.LBB68_14:
	s_or_b32 exec_lo, exec_lo, s11
	v_cndmask_b32_e64 v2, 0, 1, vcc_lo
	s_cbranch_execnz .LBB68_27
.LBB68_15:
	v_lshlrev_b32_e32 v3, 1, v0
	s_cmp_eq_u32 s1, 1
	v_cmp_ne_u32_e32 vcc_lo, 0, v0
	s_cbranch_scc1 .LBB68_21
; %bb.16:
	s_add_co_i32 s0, s8, 0x100
	s_wait_loadcnt 0x0
	ds_store_b16 v3, v1
	v_mov_b32_e32 v2, s0
	global_load_u16 v4, v2, s[4:5] scale_offset
	s_wait_xcnt 0x0
	v_mov_b32_e32 v2, 1
	s_wait_loadcnt_dscnt 0x0
	s_barrier_signal -1
	s_barrier_wait -1
	s_and_saveexec_b32 s0, vcc_lo
	s_cbranch_execz .LBB68_18
; %bb.17:
	v_add_nc_u32_e32 v2, -2, v3
	ds_load_u16 v2, v2
	s_wait_dscnt 0x0
	v_cmp_gt_f16_e32 vcc_lo, v2, v1
	v_cndmask_b32_e64 v2, 0, 1, vcc_lo
.LBB68_18:
	s_or_b32 exec_lo, exec_lo, s0
	s_delay_alu instid0(SALU_CYCLE_1)
	s_mov_b32 s0, exec_lo
	ds_store_b16 v3, v1 offset:512
	s_wait_dscnt 0x0
	s_barrier_signal -1
	s_barrier_wait -1
	v_cmpx_ne_u32_e32 0xff, v0
; %bb.19:
	ds_load_u16 v4, v3 offset:514
; %bb.20:
	s_or_b32 exec_lo, exec_lo, s0
	s_wait_dscnt 0x0
	v_cmp_lt_f16_e64 s10, v4, v1
	s_branch .LBB68_27
.LBB68_21:
                                        ; implicit-def: $sgpr10
                                        ; implicit-def: $vgpr2
	s_cbranch_execz .LBB68_27
; %bb.22:
	s_add_co_i32 s0, s8, -1
	s_add_co_i32 s1, s8, 0x100
	s_delay_alu instid0(SALU_CYCLE_1)
	v_dual_mov_b32 v5, s0 :: v_dual_mov_b32 v6, s1
	s_mov_b32 s0, exec_lo
	s_clause 0x1
	global_load_u16 v2, v5, s[4:5] scale_offset
	global_load_u16 v4, v6, s[4:5] scale_offset
	s_wait_loadcnt 0x2
	ds_store_b16 v3, v1
	s_wait_loadcnt_dscnt 0x0
	s_barrier_signal -1
	s_barrier_wait -1
	v_cmpx_ne_u32_e32 0, v0
; %bb.23:
	v_add_nc_u32_e32 v2, -2, v3
	ds_load_u16 v2, v2
; %bb.24:
	s_or_b32 exec_lo, exec_lo, s0
	s_delay_alu instid0(SALU_CYCLE_1)
	s_mov_b32 s0, exec_lo
	ds_store_b16 v3, v1 offset:512
	s_wait_dscnt 0x0
	s_barrier_signal -1
	s_barrier_wait -1
	v_cmpx_ne_u32_e32 0xff, v0
; %bb.25:
	ds_load_u16 v4, v3 offset:514
; %bb.26:
	s_or_b32 exec_lo, exec_lo, s0
	v_cmp_gt_f16_e32 vcc_lo, v2, v1
	s_wait_dscnt 0x0
	v_cmp_lt_f16_e64 s10, v4, v1
	v_cndmask_b32_e64 v2, 0, 1, vcc_lo
.LBB68_27:
	s_mov_b32 s4, 0
	s_delay_alu instid0(SALU_CYCLE_1)
	v_dual_mov_b32 v3, 0 :: v_dual_mov_b32 v5, s4
	s_lshl_b64 s[0:1], s[8:9], 3
	v_cndmask_b32_e64 v4, 0, 1, s10
	s_add_nc_u64 s[4:5], s[6:7], s[0:1]
	s_add_nc_u64 s[0:1], s[2:3], s[0:1]
	s_clause 0x1
	global_store_b64 v0, v[2:3], s[4:5] scale_offset
	global_store_b64 v0, v[4:5], s[0:1] scale_offset
	s_endpgm
	.section	.rodata,"a",@progbits
	.p2align	6, 0x0
	.amdhsa_kernel _Z27flag_heads_and_tails_kernelI6__halfiN10test_utils4lessELj256ELj1EEvPT_PxS5_
		.amdhsa_group_segment_fixed_size 1024
		.amdhsa_private_segment_fixed_size 0
		.amdhsa_kernarg_size 24
		.amdhsa_user_sgpr_count 2
		.amdhsa_user_sgpr_dispatch_ptr 0
		.amdhsa_user_sgpr_queue_ptr 0
		.amdhsa_user_sgpr_kernarg_segment_ptr 1
		.amdhsa_user_sgpr_dispatch_id 0
		.amdhsa_user_sgpr_kernarg_preload_length 0
		.amdhsa_user_sgpr_kernarg_preload_offset 0
		.amdhsa_user_sgpr_private_segment_size 0
		.amdhsa_wavefront_size32 1
		.amdhsa_uses_dynamic_stack 0
		.amdhsa_enable_private_segment 0
		.amdhsa_system_sgpr_workgroup_id_x 1
		.amdhsa_system_sgpr_workgroup_id_y 0
		.amdhsa_system_sgpr_workgroup_id_z 0
		.amdhsa_system_sgpr_workgroup_info 0
		.amdhsa_system_vgpr_workitem_id 0
		.amdhsa_next_free_vgpr 7
		.amdhsa_next_free_sgpr 13
		.amdhsa_named_barrier_count 0
		.amdhsa_reserve_vcc 1
		.amdhsa_float_round_mode_32 0
		.amdhsa_float_round_mode_16_64 0
		.amdhsa_float_denorm_mode_32 3
		.amdhsa_float_denorm_mode_16_64 3
		.amdhsa_fp16_overflow 0
		.amdhsa_memory_ordered 1
		.amdhsa_forward_progress 1
		.amdhsa_inst_pref_size 7
		.amdhsa_round_robin_scheduling 0
		.amdhsa_exception_fp_ieee_invalid_op 0
		.amdhsa_exception_fp_denorm_src 0
		.amdhsa_exception_fp_ieee_div_zero 0
		.amdhsa_exception_fp_ieee_overflow 0
		.amdhsa_exception_fp_ieee_underflow 0
		.amdhsa_exception_fp_ieee_inexact 0
		.amdhsa_exception_int_div_zero 0
	.end_amdhsa_kernel
	.section	.text._Z27flag_heads_and_tails_kernelI6__halfiN10test_utils4lessELj256ELj1EEvPT_PxS5_,"axG",@progbits,_Z27flag_heads_and_tails_kernelI6__halfiN10test_utils4lessELj256ELj1EEvPT_PxS5_,comdat
.Lfunc_end68:
	.size	_Z27flag_heads_and_tails_kernelI6__halfiN10test_utils4lessELj256ELj1EEvPT_PxS5_, .Lfunc_end68-_Z27flag_heads_and_tails_kernelI6__halfiN10test_utils4lessELj256ELj1EEvPT_PxS5_
                                        ; -- End function
	.set _Z27flag_heads_and_tails_kernelI6__halfiN10test_utils4lessELj256ELj1EEvPT_PxS5_.num_vgpr, 7
	.set _Z27flag_heads_and_tails_kernelI6__halfiN10test_utils4lessELj256ELj1EEvPT_PxS5_.num_agpr, 0
	.set _Z27flag_heads_and_tails_kernelI6__halfiN10test_utils4lessELj256ELj1EEvPT_PxS5_.numbered_sgpr, 13
	.set _Z27flag_heads_and_tails_kernelI6__halfiN10test_utils4lessELj256ELj1EEvPT_PxS5_.num_named_barrier, 0
	.set _Z27flag_heads_and_tails_kernelI6__halfiN10test_utils4lessELj256ELj1EEvPT_PxS5_.private_seg_size, 0
	.set _Z27flag_heads_and_tails_kernelI6__halfiN10test_utils4lessELj256ELj1EEvPT_PxS5_.uses_vcc, 1
	.set _Z27flag_heads_and_tails_kernelI6__halfiN10test_utils4lessELj256ELj1EEvPT_PxS5_.uses_flat_scratch, 0
	.set _Z27flag_heads_and_tails_kernelI6__halfiN10test_utils4lessELj256ELj1EEvPT_PxS5_.has_dyn_sized_stack, 0
	.set _Z27flag_heads_and_tails_kernelI6__halfiN10test_utils4lessELj256ELj1EEvPT_PxS5_.has_recursion, 0
	.set _Z27flag_heads_and_tails_kernelI6__halfiN10test_utils4lessELj256ELj1EEvPT_PxS5_.has_indirect_call, 0
	.section	.AMDGPU.csdata,"",@progbits
; Kernel info:
; codeLenInByte = 864
; TotalNumSgprs: 15
; NumVgprs: 7
; ScratchSize: 0
; MemoryBound: 0
; FloatMode: 240
; IeeeMode: 1
; LDSByteSize: 1024 bytes/workgroup (compile time only)
; SGPRBlocks: 0
; VGPRBlocks: 0
; NumSGPRsForWavesPerEU: 15
; NumVGPRsForWavesPerEU: 7
; NamedBarCnt: 0
; Occupancy: 16
; WaveLimiterHint : 0
; COMPUTE_PGM_RSRC2:SCRATCH_EN: 0
; COMPUTE_PGM_RSRC2:USER_SGPR: 2
; COMPUTE_PGM_RSRC2:TRAP_HANDLER: 0
; COMPUTE_PGM_RSRC2:TGID_X_EN: 1
; COMPUTE_PGM_RSRC2:TGID_Y_EN: 0
; COMPUTE_PGM_RSRC2:TGID_Z_EN: 0
; COMPUTE_PGM_RSRC2:TIDIG_COMP_CNT: 0
	.section	.text._Z27flag_heads_and_tails_kernelIfiN10test_utils4lessELj256ELj1EEvPT_PxS4_,"axG",@progbits,_Z27flag_heads_and_tails_kernelIfiN10test_utils4lessELj256ELj1EEvPT_PxS4_,comdat
	.protected	_Z27flag_heads_and_tails_kernelIfiN10test_utils4lessELj256ELj1EEvPT_PxS4_ ; -- Begin function _Z27flag_heads_and_tails_kernelIfiN10test_utils4lessELj256ELj1EEvPT_PxS4_
	.globl	_Z27flag_heads_and_tails_kernelIfiN10test_utils4lessELj256ELj1EEvPT_PxS4_
	.p2align	8
	.type	_Z27flag_heads_and_tails_kernelIfiN10test_utils4lessELj256ELj1EEvPT_PxS4_,@function
_Z27flag_heads_and_tails_kernelIfiN10test_utils4lessELj256ELj1EEvPT_PxS4_: ; @_Z27flag_heads_and_tails_kernelIfiN10test_utils4lessELj256ELj1EEvPT_PxS4_
; %bb.0:
	s_load_b128 s[4:7], s[0:1], 0x0
	s_bfe_u32 s2, ttmp6, 0x4000c
	s_and_b32 s3, ttmp6, 15
	s_add_co_i32 s2, s2, 1
	s_getreg_b32 s8, hwreg(HW_REG_IB_STS2, 6, 4)
	s_mul_i32 s2, ttmp9, s2
	s_mov_b32 s9, 0
	s_add_co_i32 s3, s3, s2
	s_cmp_eq_u32 s8, 0
	s_cselect_b32 s12, ttmp9, s3
	s_load_b64 s[2:3], s[0:1], 0x10
	s_lshl_b32 s8, s12, 8
	s_delay_alu instid0(SALU_CYCLE_1)
	s_lshl_b64 s[10:11], s[8:9], 2
	s_wait_kmcnt 0x0
	s_add_nc_u64 s[0:1], s[4:5], s[10:11]
	global_load_b32 v1, v0, s[0:1] scale_offset
	s_wait_xcnt 0x0
	s_and_b32 s1, s12, 3
	s_delay_alu instid0(SALU_CYCLE_1)
	s_cmp_lt_i32 s1, 2
	s_cbranch_scc1 .LBB69_8
; %bb.1:
	s_cmp_gt_i32 s1, 2
	s_cbranch_scc0 .LBB69_9
; %bb.2:
	v_dual_mov_b32 v2, 1 :: v_dual_lshlrev_b32 v3, 2, v0
	s_mov_b32 s0, exec_lo
	s_wait_loadcnt 0x0
	ds_store_b32 v3, v1
	s_wait_dscnt 0x0
	s_barrier_signal -1
	s_barrier_wait -1
	v_cmpx_ne_u32_e32 0, v0
	s_cbranch_execz .LBB69_4
; %bb.3:
	v_add_nc_u32_e32 v2, -4, v3
	ds_load_b32 v2, v2
	s_wait_dscnt 0x0
	v_cmp_lt_f32_e32 vcc_lo, v1, v2
	v_cndmask_b32_e64 v2, 0, 1, vcc_lo
.LBB69_4:
	s_or_b32 exec_lo, exec_lo, s0
	s_mov_b32 s10, -1
	s_mov_b32 s0, exec_lo
	ds_store_b32 v3, v1 offset:1024
	s_wait_dscnt 0x0
	s_barrier_signal -1
	s_barrier_wait -1
	v_cmpx_ne_u32_e32 0xff, v0
	s_cbranch_execz .LBB69_6
; %bb.5:
	ds_load_b32 v3, v3 offset:1028
	s_wait_dscnt 0x0
	v_cmp_lt_f32_e32 vcc_lo, v3, v1
	s_or_not1_b32 s10, vcc_lo, exec_lo
.LBB69_6:
	s_or_b32 exec_lo, exec_lo, s0
.LBB69_7:
	s_cbranch_execz .LBB69_15
	s_branch .LBB69_27
.LBB69_8:
                                        ; implicit-def: $sgpr10
                                        ; implicit-def: $vgpr2
	s_branch .LBB69_15
.LBB69_9:
                                        ; implicit-def: $sgpr10
                                        ; implicit-def: $vgpr2
	s_cbranch_execz .LBB69_7
; %bb.10:
	s_add_co_i32 s0, s8, -1
	s_mov_b32 s10, -1
	s_load_b32 s0, s[4:5], s0 offset:0x0 scale_offset
	s_wait_kmcnt 0x0
	v_dual_mov_b32 v3, s0 :: v_dual_lshlrev_b32 v2, 2, v0
	s_mov_b32 s0, exec_lo
	s_wait_loadcnt 0x0
	ds_store_b32 v2, v1
	s_wait_dscnt 0x0
	s_barrier_signal -1
	s_barrier_wait -1
	v_cmpx_ne_u32_e32 0, v0
; %bb.11:
	v_add_nc_u32_e32 v3, -4, v2
	ds_load_b32 v3, v3
; %bb.12:
	s_or_b32 exec_lo, exec_lo, s0
	s_delay_alu instid0(SALU_CYCLE_1)
	s_mov_b32 s11, exec_lo
	s_wait_dscnt 0x0
	v_cmp_lt_f32_e32 vcc_lo, v1, v3
	ds_store_b32 v2, v1 offset:1024
	s_wait_dscnt 0x0
	s_barrier_signal -1
	s_barrier_wait -1
	v_cmpx_ne_u32_e32 0xff, v0
	s_cbranch_execz .LBB69_14
; %bb.13:
	ds_load_b32 v2, v2 offset:1028
	s_wait_dscnt 0x0
	v_cmp_lt_f32_e64 s0, v2, v1
	s_or_not1_b32 s10, s0, exec_lo
.LBB69_14:
	s_or_b32 exec_lo, exec_lo, s11
	v_cndmask_b32_e64 v2, 0, 1, vcc_lo
	s_cbranch_execnz .LBB69_27
.LBB69_15:
	v_lshlrev_b32_e32 v3, 2, v0
	s_cmp_eq_u32 s1, 1
	v_cmp_ne_u32_e32 vcc_lo, 0, v0
	s_cbranch_scc1 .LBB69_21
; %bb.16:
	s_add_co_i32 s0, s8, 0x100
	v_mov_b32_e32 v2, 1
	s_load_b32 s0, s[4:5], s0 offset:0x0 scale_offset
	s_wait_loadcnt 0x0
	ds_store_b32 v3, v1
	s_wait_dscnt 0x0
	s_barrier_signal -1
	s_barrier_wait -1
	s_and_saveexec_b32 s1, vcc_lo
	s_cbranch_execz .LBB69_18
; %bb.17:
	v_add_nc_u32_e32 v2, -4, v3
	ds_load_b32 v2, v2
	s_wait_dscnt 0x0
	v_cmp_lt_f32_e32 vcc_lo, v1, v2
	v_cndmask_b32_e64 v2, 0, 1, vcc_lo
.LBB69_18:
	s_or_b32 exec_lo, exec_lo, s1
	s_wait_kmcnt 0x0
	v_mov_b32_e32 v4, s0
	s_mov_b32 s0, exec_lo
	ds_store_b32 v3, v1 offset:1024
	s_wait_dscnt 0x0
	s_barrier_signal -1
	s_barrier_wait -1
	v_cmpx_ne_u32_e32 0xff, v0
; %bb.19:
	ds_load_b32 v4, v3 offset:1028
; %bb.20:
	s_or_b32 exec_lo, exec_lo, s0
	s_wait_dscnt 0x0
	v_cmp_lt_f32_e64 s10, v4, v1
	s_branch .LBB69_27
.LBB69_21:
                                        ; implicit-def: $sgpr10
                                        ; implicit-def: $vgpr2
	s_cbranch_execz .LBB69_27
; %bb.22:
	s_add_co_i32 s0, s8, -1
	s_wait_loadcnt 0x0
	ds_store_b32 v3, v1
	s_load_b32 s1, s[4:5], s0 offset:0x0 scale_offset
	s_wait_xcnt 0x0
	s_add_co_i32 s0, s8, 0x100
	s_load_b32 s0, s[4:5], s0 offset:0x0 scale_offset
	s_wait_dscnt 0x0
	s_barrier_signal -1
	s_barrier_wait -1
	s_wait_kmcnt 0x0
	v_mov_b32_e32 v2, s1
	s_mov_b32 s1, exec_lo
	v_cmpx_ne_u32_e32 0, v0
; %bb.23:
	v_add_nc_u32_e32 v2, -4, v3
	ds_load_b32 v2, v2
; %bb.24:
	s_or_b32 exec_lo, exec_lo, s1
	v_mov_b32_e32 v4, s0
	s_mov_b32 s0, exec_lo
	ds_store_b32 v3, v1 offset:1024
	s_wait_dscnt 0x0
	s_barrier_signal -1
	s_barrier_wait -1
	v_cmpx_ne_u32_e32 0xff, v0
; %bb.25:
	ds_load_b32 v4, v3 offset:1028
; %bb.26:
	s_or_b32 exec_lo, exec_lo, s0
	v_cmp_lt_f32_e32 vcc_lo, v1, v2
	s_wait_dscnt 0x0
	v_cmp_lt_f32_e64 s10, v4, v1
	v_cndmask_b32_e64 v2, 0, 1, vcc_lo
.LBB69_27:
	s_mov_b32 s4, 0
	s_delay_alu instid0(SALU_CYCLE_1)
	v_dual_mov_b32 v3, 0 :: v_dual_mov_b32 v5, s4
	s_lshl_b64 s[0:1], s[8:9], 3
	v_cndmask_b32_e64 v4, 0, 1, s10
	s_add_nc_u64 s[4:5], s[6:7], s[0:1]
	s_add_nc_u64 s[0:1], s[2:3], s[0:1]
	s_clause 0x1
	global_store_b64 v0, v[2:3], s[4:5] scale_offset
	global_store_b64 v0, v[4:5], s[0:1] scale_offset
	s_endpgm
	.section	.rodata,"a",@progbits
	.p2align	6, 0x0
	.amdhsa_kernel _Z27flag_heads_and_tails_kernelIfiN10test_utils4lessELj256ELj1EEvPT_PxS4_
		.amdhsa_group_segment_fixed_size 2048
		.amdhsa_private_segment_fixed_size 0
		.amdhsa_kernarg_size 24
		.amdhsa_user_sgpr_count 2
		.amdhsa_user_sgpr_dispatch_ptr 0
		.amdhsa_user_sgpr_queue_ptr 0
		.amdhsa_user_sgpr_kernarg_segment_ptr 1
		.amdhsa_user_sgpr_dispatch_id 0
		.amdhsa_user_sgpr_kernarg_preload_length 0
		.amdhsa_user_sgpr_kernarg_preload_offset 0
		.amdhsa_user_sgpr_private_segment_size 0
		.amdhsa_wavefront_size32 1
		.amdhsa_uses_dynamic_stack 0
		.amdhsa_enable_private_segment 0
		.amdhsa_system_sgpr_workgroup_id_x 1
		.amdhsa_system_sgpr_workgroup_id_y 0
		.amdhsa_system_sgpr_workgroup_id_z 0
		.amdhsa_system_sgpr_workgroup_info 0
		.amdhsa_system_vgpr_workitem_id 0
		.amdhsa_next_free_vgpr 6
		.amdhsa_next_free_sgpr 13
		.amdhsa_named_barrier_count 0
		.amdhsa_reserve_vcc 1
		.amdhsa_float_round_mode_32 0
		.amdhsa_float_round_mode_16_64 0
		.amdhsa_float_denorm_mode_32 3
		.amdhsa_float_denorm_mode_16_64 3
		.amdhsa_fp16_overflow 0
		.amdhsa_memory_ordered 1
		.amdhsa_forward_progress 1
		.amdhsa_inst_pref_size 7
		.amdhsa_round_robin_scheduling 0
		.amdhsa_exception_fp_ieee_invalid_op 0
		.amdhsa_exception_fp_denorm_src 0
		.amdhsa_exception_fp_ieee_div_zero 0
		.amdhsa_exception_fp_ieee_overflow 0
		.amdhsa_exception_fp_ieee_underflow 0
		.amdhsa_exception_fp_ieee_inexact 0
		.amdhsa_exception_int_div_zero 0
	.end_amdhsa_kernel
	.section	.text._Z27flag_heads_and_tails_kernelIfiN10test_utils4lessELj256ELj1EEvPT_PxS4_,"axG",@progbits,_Z27flag_heads_and_tails_kernelIfiN10test_utils4lessELj256ELj1EEvPT_PxS4_,comdat
.Lfunc_end69:
	.size	_Z27flag_heads_and_tails_kernelIfiN10test_utils4lessELj256ELj1EEvPT_PxS4_, .Lfunc_end69-_Z27flag_heads_and_tails_kernelIfiN10test_utils4lessELj256ELj1EEvPT_PxS4_
                                        ; -- End function
	.set _Z27flag_heads_and_tails_kernelIfiN10test_utils4lessELj256ELj1EEvPT_PxS4_.num_vgpr, 6
	.set _Z27flag_heads_and_tails_kernelIfiN10test_utils4lessELj256ELj1EEvPT_PxS4_.num_agpr, 0
	.set _Z27flag_heads_and_tails_kernelIfiN10test_utils4lessELj256ELj1EEvPT_PxS4_.numbered_sgpr, 13
	.set _Z27flag_heads_and_tails_kernelIfiN10test_utils4lessELj256ELj1EEvPT_PxS4_.num_named_barrier, 0
	.set _Z27flag_heads_and_tails_kernelIfiN10test_utils4lessELj256ELj1EEvPT_PxS4_.private_seg_size, 0
	.set _Z27flag_heads_and_tails_kernelIfiN10test_utils4lessELj256ELj1EEvPT_PxS4_.uses_vcc, 1
	.set _Z27flag_heads_and_tails_kernelIfiN10test_utils4lessELj256ELj1EEvPT_PxS4_.uses_flat_scratch, 0
	.set _Z27flag_heads_and_tails_kernelIfiN10test_utils4lessELj256ELj1EEvPT_PxS4_.has_dyn_sized_stack, 0
	.set _Z27flag_heads_and_tails_kernelIfiN10test_utils4lessELj256ELj1EEvPT_PxS4_.has_recursion, 0
	.set _Z27flag_heads_and_tails_kernelIfiN10test_utils4lessELj256ELj1EEvPT_PxS4_.has_indirect_call, 0
	.section	.AMDGPU.csdata,"",@progbits
; Kernel info:
; codeLenInByte = 840
; TotalNumSgprs: 15
; NumVgprs: 6
; ScratchSize: 0
; MemoryBound: 0
; FloatMode: 240
; IeeeMode: 1
; LDSByteSize: 2048 bytes/workgroup (compile time only)
; SGPRBlocks: 0
; VGPRBlocks: 0
; NumSGPRsForWavesPerEU: 15
; NumVGPRsForWavesPerEU: 6
; NamedBarCnt: 0
; Occupancy: 16
; WaveLimiterHint : 0
; COMPUTE_PGM_RSRC2:SCRATCH_EN: 0
; COMPUTE_PGM_RSRC2:USER_SGPR: 2
; COMPUTE_PGM_RSRC2:TRAP_HANDLER: 0
; COMPUTE_PGM_RSRC2:TGID_X_EN: 1
; COMPUTE_PGM_RSRC2:TGID_Y_EN: 0
; COMPUTE_PGM_RSRC2:TGID_Z_EN: 0
; COMPUTE_PGM_RSRC2:TIDIG_COMP_CNT: 0
	.section	.text._Z27flag_heads_and_tails_kernelIibN6hipcub10InequalityELj128ELj1EEvPT_PxS4_,"axG",@progbits,_Z27flag_heads_and_tails_kernelIibN6hipcub10InequalityELj128ELj1EEvPT_PxS4_,comdat
	.protected	_Z27flag_heads_and_tails_kernelIibN6hipcub10InequalityELj128ELj1EEvPT_PxS4_ ; -- Begin function _Z27flag_heads_and_tails_kernelIibN6hipcub10InequalityELj128ELj1EEvPT_PxS4_
	.globl	_Z27flag_heads_and_tails_kernelIibN6hipcub10InequalityELj128ELj1EEvPT_PxS4_
	.p2align	8
	.type	_Z27flag_heads_and_tails_kernelIibN6hipcub10InequalityELj128ELj1EEvPT_PxS4_,@function
_Z27flag_heads_and_tails_kernelIibN6hipcub10InequalityELj128ELj1EEvPT_PxS4_: ; @_Z27flag_heads_and_tails_kernelIibN6hipcub10InequalityELj128ELj1EEvPT_PxS4_
; %bb.0:
	s_load_b128 s[4:7], s[0:1], 0x0
	s_bfe_u32 s2, ttmp6, 0x4000c
	s_and_b32 s3, ttmp6, 15
	s_add_co_i32 s2, s2, 1
	s_getreg_b32 s8, hwreg(HW_REG_IB_STS2, 6, 4)
	s_mul_i32 s2, ttmp9, s2
	s_mov_b32 s9, 0
	s_add_co_i32 s3, s3, s2
	s_cmp_eq_u32 s8, 0
	s_cselect_b32 s12, ttmp9, s3
	s_load_b64 s[2:3], s[0:1], 0x10
	s_lshl_b32 s8, s12, 7
	s_delay_alu instid0(SALU_CYCLE_1)
	s_lshl_b64 s[10:11], s[8:9], 2
	s_wait_kmcnt 0x0
	s_add_nc_u64 s[0:1], s[4:5], s[10:11]
	global_load_b32 v1, v0, s[0:1] scale_offset
	s_wait_xcnt 0x0
	s_and_b32 s1, s12, 3
	s_delay_alu instid0(SALU_CYCLE_1)
	s_cmp_lt_i32 s1, 2
	s_cbranch_scc1 .LBB70_8
; %bb.1:
	s_cmp_gt_i32 s1, 2
	s_cbranch_scc0 .LBB70_9
; %bb.2:
	v_dual_mov_b32 v2, 1 :: v_dual_lshlrev_b32 v3, 2, v0
	s_mov_b32 s0, exec_lo
	s_wait_loadcnt 0x0
	ds_store_b32 v3, v1
	s_wait_dscnt 0x0
	s_barrier_signal -1
	s_barrier_wait -1
	v_cmpx_ne_u32_e32 0, v0
	s_cbranch_execz .LBB70_4
; %bb.3:
	v_add_nc_u32_e32 v2, -4, v3
	ds_load_b32 v2, v2
	s_wait_dscnt 0x0
	v_cmp_ne_u32_e32 vcc_lo, v1, v2
	v_cndmask_b32_e64 v2, 0, 1, vcc_lo
.LBB70_4:
	s_or_b32 exec_lo, exec_lo, s0
	s_mov_b32 s10, -1
	s_mov_b32 s0, exec_lo
	ds_store_b32 v3, v1 offset:512
	s_wait_dscnt 0x0
	s_barrier_signal -1
	s_barrier_wait -1
	v_cmpx_ne_u32_e32 0x7f, v0
	s_cbranch_execz .LBB70_6
; %bb.5:
	ds_load_b32 v3, v3 offset:516
	s_wait_dscnt 0x0
	v_cmp_ne_u32_e32 vcc_lo, v3, v1
	s_or_not1_b32 s10, vcc_lo, exec_lo
.LBB70_6:
	s_or_b32 exec_lo, exec_lo, s0
.LBB70_7:
	s_cbranch_execz .LBB70_15
	s_branch .LBB70_27
.LBB70_8:
                                        ; implicit-def: $sgpr10
                                        ; implicit-def: $vgpr2
	s_branch .LBB70_15
.LBB70_9:
                                        ; implicit-def: $sgpr10
                                        ; implicit-def: $vgpr2
	s_cbranch_execz .LBB70_7
; %bb.10:
	s_add_co_i32 s0, s8, -1
	s_mov_b32 s10, -1
	s_load_b32 s0, s[4:5], s0 offset:0x0 scale_offset
	s_wait_kmcnt 0x0
	v_dual_mov_b32 v3, s0 :: v_dual_lshlrev_b32 v2, 2, v0
	s_mov_b32 s0, exec_lo
	s_wait_loadcnt 0x0
	ds_store_b32 v2, v1
	s_wait_dscnt 0x0
	s_barrier_signal -1
	s_barrier_wait -1
	v_cmpx_ne_u32_e32 0, v0
; %bb.11:
	v_add_nc_u32_e32 v3, -4, v2
	ds_load_b32 v3, v3
; %bb.12:
	s_or_b32 exec_lo, exec_lo, s0
	s_delay_alu instid0(SALU_CYCLE_1)
	s_mov_b32 s11, exec_lo
	s_wait_dscnt 0x0
	v_cmp_ne_u32_e32 vcc_lo, v1, v3
	ds_store_b32 v2, v1 offset:512
	s_wait_dscnt 0x0
	s_barrier_signal -1
	s_barrier_wait -1
	v_cmpx_ne_u32_e32 0x7f, v0
	s_cbranch_execz .LBB70_14
; %bb.13:
	ds_load_b32 v2, v2 offset:516
	s_wait_dscnt 0x0
	v_cmp_ne_u32_e64 s0, v2, v1
	s_or_not1_b32 s10, s0, exec_lo
.LBB70_14:
	s_or_b32 exec_lo, exec_lo, s11
	v_cndmask_b32_e64 v2, 0, 1, vcc_lo
	s_cbranch_execnz .LBB70_27
.LBB70_15:
	v_lshlrev_b32_e32 v3, 2, v0
	s_cmp_eq_u32 s1, 1
	v_cmp_ne_u32_e32 vcc_lo, 0, v0
	s_cbranch_scc1 .LBB70_21
; %bb.16:
	s_add_co_i32 s0, s8, 0x80
	v_mov_b32_e32 v2, 1
	s_load_b32 s0, s[4:5], s0 offset:0x0 scale_offset
	s_wait_loadcnt 0x0
	ds_store_b32 v3, v1
	s_wait_dscnt 0x0
	s_barrier_signal -1
	s_barrier_wait -1
	s_and_saveexec_b32 s1, vcc_lo
	s_cbranch_execz .LBB70_18
; %bb.17:
	v_add_nc_u32_e32 v2, -4, v3
	ds_load_b32 v2, v2
	s_wait_dscnt 0x0
	v_cmp_ne_u32_e32 vcc_lo, v1, v2
	v_cndmask_b32_e64 v2, 0, 1, vcc_lo
.LBB70_18:
	s_or_b32 exec_lo, exec_lo, s1
	s_wait_kmcnt 0x0
	v_mov_b32_e32 v4, s0
	s_mov_b32 s0, exec_lo
	ds_store_b32 v3, v1 offset:512
	s_wait_dscnt 0x0
	s_barrier_signal -1
	s_barrier_wait -1
	v_cmpx_ne_u32_e32 0x7f, v0
; %bb.19:
	ds_load_b32 v4, v3 offset:516
; %bb.20:
	s_or_b32 exec_lo, exec_lo, s0
	s_wait_dscnt 0x0
	v_cmp_ne_u32_e64 s10, v4, v1
	s_branch .LBB70_27
.LBB70_21:
                                        ; implicit-def: $sgpr10
                                        ; implicit-def: $vgpr2
	s_cbranch_execz .LBB70_27
; %bb.22:
	s_add_co_i32 s0, s8, -1
	s_wait_loadcnt 0x0
	ds_store_b32 v3, v1
	s_load_b32 s1, s[4:5], s0 offset:0x0 scale_offset
	s_wait_xcnt 0x0
	s_add_co_i32 s0, s8, 0x80
	s_load_b32 s0, s[4:5], s0 offset:0x0 scale_offset
	s_wait_dscnt 0x0
	s_barrier_signal -1
	s_barrier_wait -1
	s_wait_kmcnt 0x0
	v_mov_b32_e32 v2, s1
	s_mov_b32 s1, exec_lo
	v_cmpx_ne_u32_e32 0, v0
; %bb.23:
	v_add_nc_u32_e32 v2, -4, v3
	ds_load_b32 v2, v2
; %bb.24:
	s_or_b32 exec_lo, exec_lo, s1
	v_mov_b32_e32 v4, s0
	s_mov_b32 s0, exec_lo
	ds_store_b32 v3, v1 offset:512
	s_wait_dscnt 0x0
	s_barrier_signal -1
	s_barrier_wait -1
	v_cmpx_ne_u32_e32 0x7f, v0
; %bb.25:
	ds_load_b32 v4, v3 offset:516
; %bb.26:
	s_or_b32 exec_lo, exec_lo, s0
	v_cmp_ne_u32_e32 vcc_lo, v1, v2
	s_wait_dscnt 0x0
	v_cmp_ne_u32_e64 s10, v4, v1
	v_cndmask_b32_e64 v2, 0, 1, vcc_lo
.LBB70_27:
	s_mov_b32 s4, 0
	s_delay_alu instid0(VALU_DEP_1)
	v_and_b32_e32 v2, 0xff, v2
	v_dual_mov_b32 v3, 0 :: v_dual_mov_b32 v5, s4
	s_lshl_b64 s[0:1], s[8:9], 3
	v_cndmask_b32_e64 v4, 0, 1, s10
	s_add_nc_u64 s[4:5], s[6:7], s[0:1]
	s_add_nc_u64 s[0:1], s[2:3], s[0:1]
	s_clause 0x1
	global_store_b64 v0, v[2:3], s[4:5] scale_offset
	global_store_b64 v0, v[4:5], s[0:1] scale_offset
	s_endpgm
	.section	.rodata,"a",@progbits
	.p2align	6, 0x0
	.amdhsa_kernel _Z27flag_heads_and_tails_kernelIibN6hipcub10InequalityELj128ELj1EEvPT_PxS4_
		.amdhsa_group_segment_fixed_size 1024
		.amdhsa_private_segment_fixed_size 0
		.amdhsa_kernarg_size 24
		.amdhsa_user_sgpr_count 2
		.amdhsa_user_sgpr_dispatch_ptr 0
		.amdhsa_user_sgpr_queue_ptr 0
		.amdhsa_user_sgpr_kernarg_segment_ptr 1
		.amdhsa_user_sgpr_dispatch_id 0
		.amdhsa_user_sgpr_kernarg_preload_length 0
		.amdhsa_user_sgpr_kernarg_preload_offset 0
		.amdhsa_user_sgpr_private_segment_size 0
		.amdhsa_wavefront_size32 1
		.amdhsa_uses_dynamic_stack 0
		.amdhsa_enable_private_segment 0
		.amdhsa_system_sgpr_workgroup_id_x 1
		.amdhsa_system_sgpr_workgroup_id_y 0
		.amdhsa_system_sgpr_workgroup_id_z 0
		.amdhsa_system_sgpr_workgroup_info 0
		.amdhsa_system_vgpr_workitem_id 0
		.amdhsa_next_free_vgpr 6
		.amdhsa_next_free_sgpr 13
		.amdhsa_named_barrier_count 0
		.amdhsa_reserve_vcc 1
		.amdhsa_float_round_mode_32 0
		.amdhsa_float_round_mode_16_64 0
		.amdhsa_float_denorm_mode_32 3
		.amdhsa_float_denorm_mode_16_64 3
		.amdhsa_fp16_overflow 0
		.amdhsa_memory_ordered 1
		.amdhsa_forward_progress 1
		.amdhsa_inst_pref_size 7
		.amdhsa_round_robin_scheduling 0
		.amdhsa_exception_fp_ieee_invalid_op 0
		.amdhsa_exception_fp_denorm_src 0
		.amdhsa_exception_fp_ieee_div_zero 0
		.amdhsa_exception_fp_ieee_overflow 0
		.amdhsa_exception_fp_ieee_underflow 0
		.amdhsa_exception_fp_ieee_inexact 0
		.amdhsa_exception_int_div_zero 0
	.end_amdhsa_kernel
	.section	.text._Z27flag_heads_and_tails_kernelIibN6hipcub10InequalityELj128ELj1EEvPT_PxS4_,"axG",@progbits,_Z27flag_heads_and_tails_kernelIibN6hipcub10InequalityELj128ELj1EEvPT_PxS4_,comdat
.Lfunc_end70:
	.size	_Z27flag_heads_and_tails_kernelIibN6hipcub10InequalityELj128ELj1EEvPT_PxS4_, .Lfunc_end70-_Z27flag_heads_and_tails_kernelIibN6hipcub10InequalityELj128ELj1EEvPT_PxS4_
                                        ; -- End function
	.set _Z27flag_heads_and_tails_kernelIibN6hipcub10InequalityELj128ELj1EEvPT_PxS4_.num_vgpr, 6
	.set _Z27flag_heads_and_tails_kernelIibN6hipcub10InequalityELj128ELj1EEvPT_PxS4_.num_agpr, 0
	.set _Z27flag_heads_and_tails_kernelIibN6hipcub10InequalityELj128ELj1EEvPT_PxS4_.numbered_sgpr, 13
	.set _Z27flag_heads_and_tails_kernelIibN6hipcub10InequalityELj128ELj1EEvPT_PxS4_.num_named_barrier, 0
	.set _Z27flag_heads_and_tails_kernelIibN6hipcub10InequalityELj128ELj1EEvPT_PxS4_.private_seg_size, 0
	.set _Z27flag_heads_and_tails_kernelIibN6hipcub10InequalityELj128ELj1EEvPT_PxS4_.uses_vcc, 1
	.set _Z27flag_heads_and_tails_kernelIibN6hipcub10InequalityELj128ELj1EEvPT_PxS4_.uses_flat_scratch, 0
	.set _Z27flag_heads_and_tails_kernelIibN6hipcub10InequalityELj128ELj1EEvPT_PxS4_.has_dyn_sized_stack, 0
	.set _Z27flag_heads_and_tails_kernelIibN6hipcub10InequalityELj128ELj1EEvPT_PxS4_.has_recursion, 0
	.set _Z27flag_heads_and_tails_kernelIibN6hipcub10InequalityELj128ELj1EEvPT_PxS4_.has_indirect_call, 0
	.section	.AMDGPU.csdata,"",@progbits
; Kernel info:
; codeLenInByte = 848
; TotalNumSgprs: 15
; NumVgprs: 6
; ScratchSize: 0
; MemoryBound: 0
; FloatMode: 240
; IeeeMode: 1
; LDSByteSize: 1024 bytes/workgroup (compile time only)
; SGPRBlocks: 0
; VGPRBlocks: 0
; NumSGPRsForWavesPerEU: 15
; NumVGPRsForWavesPerEU: 6
; NamedBarCnt: 0
; Occupancy: 16
; WaveLimiterHint : 0
; COMPUTE_PGM_RSRC2:SCRATCH_EN: 0
; COMPUTE_PGM_RSRC2:USER_SGPR: 2
; COMPUTE_PGM_RSRC2:TRAP_HANDLER: 0
; COMPUTE_PGM_RSRC2:TGID_X_EN: 1
; COMPUTE_PGM_RSRC2:TGID_Y_EN: 0
; COMPUTE_PGM_RSRC2:TGID_Z_EN: 0
; COMPUTE_PGM_RSRC2:TIDIG_COMP_CNT: 0
	.section	.text._Z27flag_heads_and_tails_kernelIjiN6hipcub8EqualityELj64ELj1EEvPT_PxS4_,"axG",@progbits,_Z27flag_heads_and_tails_kernelIjiN6hipcub8EqualityELj64ELj1EEvPT_PxS4_,comdat
	.protected	_Z27flag_heads_and_tails_kernelIjiN6hipcub8EqualityELj64ELj1EEvPT_PxS4_ ; -- Begin function _Z27flag_heads_and_tails_kernelIjiN6hipcub8EqualityELj64ELj1EEvPT_PxS4_
	.globl	_Z27flag_heads_and_tails_kernelIjiN6hipcub8EqualityELj64ELj1EEvPT_PxS4_
	.p2align	8
	.type	_Z27flag_heads_and_tails_kernelIjiN6hipcub8EqualityELj64ELj1EEvPT_PxS4_,@function
_Z27flag_heads_and_tails_kernelIjiN6hipcub8EqualityELj64ELj1EEvPT_PxS4_: ; @_Z27flag_heads_and_tails_kernelIjiN6hipcub8EqualityELj64ELj1EEvPT_PxS4_
; %bb.0:
	s_load_b128 s[4:7], s[0:1], 0x0
	s_bfe_u32 s2, ttmp6, 0x4000c
	s_and_b32 s3, ttmp6, 15
	s_add_co_i32 s2, s2, 1
	s_getreg_b32 s8, hwreg(HW_REG_IB_STS2, 6, 4)
	s_mul_i32 s2, ttmp9, s2
	s_mov_b32 s9, 0
	s_add_co_i32 s3, s3, s2
	s_cmp_eq_u32 s8, 0
	s_cselect_b32 s12, ttmp9, s3
	s_load_b64 s[2:3], s[0:1], 0x10
	s_lshl_b32 s8, s12, 6
	s_delay_alu instid0(SALU_CYCLE_1)
	s_lshl_b64 s[10:11], s[8:9], 2
	s_wait_kmcnt 0x0
	s_add_nc_u64 s[0:1], s[4:5], s[10:11]
	global_load_b32 v1, v0, s[0:1] scale_offset
	s_wait_xcnt 0x0
	s_and_b32 s1, s12, 3
	s_delay_alu instid0(SALU_CYCLE_1)
	s_cmp_lt_i32 s1, 2
	s_cbranch_scc1 .LBB71_8
; %bb.1:
	s_cmp_gt_i32 s1, 2
	s_cbranch_scc0 .LBB71_9
; %bb.2:
	v_dual_mov_b32 v2, 1 :: v_dual_lshlrev_b32 v3, 2, v0
	s_mov_b32 s0, exec_lo
	s_wait_loadcnt 0x0
	ds_store_b32 v3, v1
	s_wait_dscnt 0x0
	s_barrier_signal -1
	s_barrier_wait -1
	v_cmpx_ne_u32_e32 0, v0
	s_cbranch_execz .LBB71_4
; %bb.3:
	v_add_nc_u32_e32 v2, -4, v3
	ds_load_b32 v2, v2
	s_wait_dscnt 0x0
	v_cmp_eq_u32_e32 vcc_lo, v1, v2
	v_cndmask_b32_e64 v2, 0, 1, vcc_lo
.LBB71_4:
	s_or_b32 exec_lo, exec_lo, s0
	s_mov_b32 s10, -1
	s_mov_b32 s0, exec_lo
	ds_store_b32 v3, v1 offset:256
	s_wait_dscnt 0x0
	s_barrier_signal -1
	s_barrier_wait -1
	v_cmpx_ne_u32_e32 63, v0
	s_cbranch_execz .LBB71_6
; %bb.5:
	ds_load_b32 v3, v3 offset:260
	s_wait_dscnt 0x0
	v_cmp_eq_u32_e32 vcc_lo, v3, v1
	s_or_not1_b32 s10, vcc_lo, exec_lo
.LBB71_6:
	s_or_b32 exec_lo, exec_lo, s0
.LBB71_7:
	s_cbranch_execz .LBB71_15
	s_branch .LBB71_27
.LBB71_8:
                                        ; implicit-def: $sgpr10
                                        ; implicit-def: $vgpr2
	s_branch .LBB71_15
.LBB71_9:
                                        ; implicit-def: $sgpr10
                                        ; implicit-def: $vgpr2
	s_cbranch_execz .LBB71_7
; %bb.10:
	s_add_co_i32 s0, s8, -1
	s_mov_b32 s10, -1
	s_load_b32 s0, s[4:5], s0 offset:0x0 scale_offset
	s_wait_kmcnt 0x0
	v_dual_mov_b32 v3, s0 :: v_dual_lshlrev_b32 v2, 2, v0
	s_mov_b32 s0, exec_lo
	s_wait_loadcnt 0x0
	ds_store_b32 v2, v1
	s_wait_dscnt 0x0
	s_barrier_signal -1
	s_barrier_wait -1
	v_cmpx_ne_u32_e32 0, v0
; %bb.11:
	v_add_nc_u32_e32 v3, -4, v2
	ds_load_b32 v3, v3
; %bb.12:
	s_or_b32 exec_lo, exec_lo, s0
	s_delay_alu instid0(SALU_CYCLE_1)
	s_mov_b32 s11, exec_lo
	s_wait_dscnt 0x0
	v_cmp_eq_u32_e32 vcc_lo, v1, v3
	ds_store_b32 v2, v1 offset:256
	s_wait_dscnt 0x0
	s_barrier_signal -1
	s_barrier_wait -1
	v_cmpx_ne_u32_e32 63, v0
	s_cbranch_execz .LBB71_14
; %bb.13:
	ds_load_b32 v2, v2 offset:260
	s_wait_dscnt 0x0
	v_cmp_eq_u32_e64 s0, v2, v1
	s_or_not1_b32 s10, s0, exec_lo
.LBB71_14:
	s_or_b32 exec_lo, exec_lo, s11
	v_cndmask_b32_e64 v2, 0, 1, vcc_lo
	s_cbranch_execnz .LBB71_27
.LBB71_15:
	v_lshlrev_b32_e32 v3, 2, v0
	s_cmp_eq_u32 s1, 1
	v_cmp_ne_u32_e32 vcc_lo, 0, v0
	s_cbranch_scc1 .LBB71_21
; %bb.16:
	s_add_co_i32 s0, s8, 64
	v_mov_b32_e32 v2, 1
	s_load_b32 s0, s[4:5], s0 offset:0x0 scale_offset
	s_wait_loadcnt 0x0
	ds_store_b32 v3, v1
	s_wait_dscnt 0x0
	s_barrier_signal -1
	s_barrier_wait -1
	s_and_saveexec_b32 s1, vcc_lo
	s_cbranch_execz .LBB71_18
; %bb.17:
	v_add_nc_u32_e32 v2, -4, v3
	ds_load_b32 v2, v2
	s_wait_dscnt 0x0
	v_cmp_eq_u32_e32 vcc_lo, v1, v2
	v_cndmask_b32_e64 v2, 0, 1, vcc_lo
.LBB71_18:
	s_or_b32 exec_lo, exec_lo, s1
	s_wait_kmcnt 0x0
	v_mov_b32_e32 v4, s0
	s_mov_b32 s0, exec_lo
	ds_store_b32 v3, v1 offset:256
	s_wait_dscnt 0x0
	s_barrier_signal -1
	s_barrier_wait -1
	v_cmpx_ne_u32_e32 63, v0
; %bb.19:
	ds_load_b32 v4, v3 offset:260
; %bb.20:
	s_or_b32 exec_lo, exec_lo, s0
	s_wait_dscnt 0x0
	v_cmp_eq_u32_e64 s10, v4, v1
	s_branch .LBB71_27
.LBB71_21:
                                        ; implicit-def: $sgpr10
                                        ; implicit-def: $vgpr2
	s_cbranch_execz .LBB71_27
; %bb.22:
	s_add_co_i32 s0, s8, -1
	s_wait_loadcnt 0x0
	ds_store_b32 v3, v1
	s_load_b32 s1, s[4:5], s0 offset:0x0 scale_offset
	s_wait_xcnt 0x0
	s_add_co_i32 s0, s8, 64
	s_load_b32 s0, s[4:5], s0 offset:0x0 scale_offset
	s_wait_dscnt 0x0
	s_barrier_signal -1
	s_barrier_wait -1
	s_wait_kmcnt 0x0
	v_mov_b32_e32 v2, s1
	s_mov_b32 s1, exec_lo
	v_cmpx_ne_u32_e32 0, v0
; %bb.23:
	v_add_nc_u32_e32 v2, -4, v3
	ds_load_b32 v2, v2
; %bb.24:
	s_or_b32 exec_lo, exec_lo, s1
	v_mov_b32_e32 v4, s0
	s_mov_b32 s0, exec_lo
	ds_store_b32 v3, v1 offset:256
	s_wait_dscnt 0x0
	s_barrier_signal -1
	s_barrier_wait -1
	v_cmpx_ne_u32_e32 63, v0
; %bb.25:
	ds_load_b32 v4, v3 offset:260
; %bb.26:
	s_or_b32 exec_lo, exec_lo, s0
	v_cmp_eq_u32_e32 vcc_lo, v1, v2
	s_wait_dscnt 0x0
	v_cmp_eq_u32_e64 s10, v4, v1
	v_cndmask_b32_e64 v2, 0, 1, vcc_lo
.LBB71_27:
	s_mov_b32 s4, 0
	s_delay_alu instid0(SALU_CYCLE_1)
	v_dual_mov_b32 v3, 0 :: v_dual_mov_b32 v5, s4
	s_lshl_b64 s[0:1], s[8:9], 3
	v_cndmask_b32_e64 v4, 0, 1, s10
	s_add_nc_u64 s[4:5], s[6:7], s[0:1]
	s_add_nc_u64 s[0:1], s[2:3], s[0:1]
	s_clause 0x1
	global_store_b64 v0, v[2:3], s[4:5] scale_offset
	global_store_b64 v0, v[4:5], s[0:1] scale_offset
	s_endpgm
	.section	.rodata,"a",@progbits
	.p2align	6, 0x0
	.amdhsa_kernel _Z27flag_heads_and_tails_kernelIjiN6hipcub8EqualityELj64ELj1EEvPT_PxS4_
		.amdhsa_group_segment_fixed_size 512
		.amdhsa_private_segment_fixed_size 0
		.amdhsa_kernarg_size 24
		.amdhsa_user_sgpr_count 2
		.amdhsa_user_sgpr_dispatch_ptr 0
		.amdhsa_user_sgpr_queue_ptr 0
		.amdhsa_user_sgpr_kernarg_segment_ptr 1
		.amdhsa_user_sgpr_dispatch_id 0
		.amdhsa_user_sgpr_kernarg_preload_length 0
		.amdhsa_user_sgpr_kernarg_preload_offset 0
		.amdhsa_user_sgpr_private_segment_size 0
		.amdhsa_wavefront_size32 1
		.amdhsa_uses_dynamic_stack 0
		.amdhsa_enable_private_segment 0
		.amdhsa_system_sgpr_workgroup_id_x 1
		.amdhsa_system_sgpr_workgroup_id_y 0
		.amdhsa_system_sgpr_workgroup_id_z 0
		.amdhsa_system_sgpr_workgroup_info 0
		.amdhsa_system_vgpr_workitem_id 0
		.amdhsa_next_free_vgpr 6
		.amdhsa_next_free_sgpr 13
		.amdhsa_named_barrier_count 0
		.amdhsa_reserve_vcc 1
		.amdhsa_float_round_mode_32 0
		.amdhsa_float_round_mode_16_64 0
		.amdhsa_float_denorm_mode_32 3
		.amdhsa_float_denorm_mode_16_64 3
		.amdhsa_fp16_overflow 0
		.amdhsa_memory_ordered 1
		.amdhsa_forward_progress 1
		.amdhsa_inst_pref_size 7
		.amdhsa_round_robin_scheduling 0
		.amdhsa_exception_fp_ieee_invalid_op 0
		.amdhsa_exception_fp_denorm_src 0
		.amdhsa_exception_fp_ieee_div_zero 0
		.amdhsa_exception_fp_ieee_overflow 0
		.amdhsa_exception_fp_ieee_underflow 0
		.amdhsa_exception_fp_ieee_inexact 0
		.amdhsa_exception_int_div_zero 0
	.end_amdhsa_kernel
	.section	.text._Z27flag_heads_and_tails_kernelIjiN6hipcub8EqualityELj64ELj1EEvPT_PxS4_,"axG",@progbits,_Z27flag_heads_and_tails_kernelIjiN6hipcub8EqualityELj64ELj1EEvPT_PxS4_,comdat
.Lfunc_end71:
	.size	_Z27flag_heads_and_tails_kernelIjiN6hipcub8EqualityELj64ELj1EEvPT_PxS4_, .Lfunc_end71-_Z27flag_heads_and_tails_kernelIjiN6hipcub8EqualityELj64ELj1EEvPT_PxS4_
                                        ; -- End function
	.set _Z27flag_heads_and_tails_kernelIjiN6hipcub8EqualityELj64ELj1EEvPT_PxS4_.num_vgpr, 6
	.set _Z27flag_heads_and_tails_kernelIjiN6hipcub8EqualityELj64ELj1EEvPT_PxS4_.num_agpr, 0
	.set _Z27flag_heads_and_tails_kernelIjiN6hipcub8EqualityELj64ELj1EEvPT_PxS4_.numbered_sgpr, 13
	.set _Z27flag_heads_and_tails_kernelIjiN6hipcub8EqualityELj64ELj1EEvPT_PxS4_.num_named_barrier, 0
	.set _Z27flag_heads_and_tails_kernelIjiN6hipcub8EqualityELj64ELj1EEvPT_PxS4_.private_seg_size, 0
	.set _Z27flag_heads_and_tails_kernelIjiN6hipcub8EqualityELj64ELj1EEvPT_PxS4_.uses_vcc, 1
	.set _Z27flag_heads_and_tails_kernelIjiN6hipcub8EqualityELj64ELj1EEvPT_PxS4_.uses_flat_scratch, 0
	.set _Z27flag_heads_and_tails_kernelIjiN6hipcub8EqualityELj64ELj1EEvPT_PxS4_.has_dyn_sized_stack, 0
	.set _Z27flag_heads_and_tails_kernelIjiN6hipcub8EqualityELj64ELj1EEvPT_PxS4_.has_recursion, 0
	.set _Z27flag_heads_and_tails_kernelIjiN6hipcub8EqualityELj64ELj1EEvPT_PxS4_.has_indirect_call, 0
	.section	.AMDGPU.csdata,"",@progbits
; Kernel info:
; codeLenInByte = 816
; TotalNumSgprs: 15
; NumVgprs: 6
; ScratchSize: 0
; MemoryBound: 0
; FloatMode: 240
; IeeeMode: 1
; LDSByteSize: 512 bytes/workgroup (compile time only)
; SGPRBlocks: 0
; VGPRBlocks: 0
; NumSGPRsForWavesPerEU: 15
; NumVGPRsForWavesPerEU: 6
; NamedBarCnt: 0
; Occupancy: 16
; WaveLimiterHint : 0
; COMPUTE_PGM_RSRC2:SCRATCH_EN: 0
; COMPUTE_PGM_RSRC2:USER_SGPR: 2
; COMPUTE_PGM_RSRC2:TRAP_HANDLER: 0
; COMPUTE_PGM_RSRC2:TGID_X_EN: 1
; COMPUTE_PGM_RSRC2:TGID_Y_EN: 0
; COMPUTE_PGM_RSRC2:TGID_Z_EN: 0
; COMPUTE_PGM_RSRC2:TIDIG_COMP_CNT: 0
	.section	.text._Z20subtract_left_kernelIsbi10custom_op2Lj234ELj9EEvPKT_PT1_,"axG",@progbits,_Z20subtract_left_kernelIsbi10custom_op2Lj234ELj9EEvPKT_PT1_,comdat
	.protected	_Z20subtract_left_kernelIsbi10custom_op2Lj234ELj9EEvPKT_PT1_ ; -- Begin function _Z20subtract_left_kernelIsbi10custom_op2Lj234ELj9EEvPKT_PT1_
	.globl	_Z20subtract_left_kernelIsbi10custom_op2Lj234ELj9EEvPKT_PT1_
	.p2align	8
	.type	_Z20subtract_left_kernelIsbi10custom_op2Lj234ELj9EEvPKT_PT1_,@function
_Z20subtract_left_kernelIsbi10custom_op2Lj234ELj9EEvPKT_PT1_: ; @_Z20subtract_left_kernelIsbi10custom_op2Lj234ELj9EEvPKT_PT1_
; %bb.0:
	s_load_b128 s[0:3], s[0:1], 0x0
	s_bfe_u32 s4, ttmp6, 0x4000c
	s_and_b32 s5, ttmp6, 15
	s_add_co_i32 s4, s4, 1
	s_getreg_b32 s6, hwreg(HW_REG_IB_STS2, 6, 4)
	s_mul_i32 s4, ttmp9, s4
	v_mul_u32_u24_e32 v1, 9, v0
	s_add_co_i32 s5, s5, s4
	s_cmp_eq_u32 s6, 0
	v_cmp_ne_u32_e32 vcc_lo, 0, v0
	s_cselect_b32 s8, ttmp9, s5
	s_mov_b32 s5, 0
	s_mul_i32 s4, s8, 0x83a
	v_lshlrev_b32_e32 v6, 1, v1
	s_lshl_b64 s[6:7], s[4:5], 1
	s_bitcmp0_b32 s8, 0
	s_wait_kmcnt 0x0
	s_add_nc_u64 s[6:7], s[0:1], s[6:7]
	s_clause 0x1
	global_load_b128 v[2:5], v6, s[6:7]
	global_load_u16 v7, v1, s[6:7] offset:16 scale_offset
	s_wait_xcnt 0x1
	v_lshlrev_b32_e32 v6, 1, v0
	s_cbranch_scc1 .LBB72_4
; %bb.1:
	s_wait_xcnt 0x0
	s_add_co_i32 s6, s4, -1
	s_wait_loadcnt 0x0
	ds_store_b16 v6, v7
	v_mov_b32_e32 v8, s6
	global_load_u16 v8, v8, s[0:1] scale_offset
	s_wait_loadcnt_dscnt 0x0
	s_barrier_signal -1
	s_barrier_wait -1
	s_and_saveexec_b32 s0, vcc_lo
; %bb.2:
	v_add_nc_u32_e32 v8, -2, v6
	ds_load_u16 v8, v8
; %bb.3:
	s_or_b32 exec_lo, exec_lo, s0
	v_dual_lshrrev_b32 v10, 16, v5 :: v_dual_lshrrev_b32 v14, 16, v2
	v_pk_lshlrev_b16 v13, 1, v2 op_sel_hi:[0,1]
	v_pk_lshlrev_b16 v12, 1, v3 op_sel_hi:[0,1]
	v_dual_lshrrev_b32 v15, 16, v4 :: v_dual_lshrrev_b32 v16, 16, v3
	v_pk_lshlrev_b16 v9, 1, v5 op_sel_hi:[0,1]
	s_delay_alu instid0(VALU_DEP_4)
	v_cmp_ne_u16_e32 vcc_lo, v13, v14
	v_pk_lshlrev_b16 v11, 1, v4 op_sel_hi:[0,1]
	v_lshrrev_b32_e32 v18, 16, v12
	s_wait_dscnt 0x0
	v_lshlrev_b16 v8, 1, v8
	v_cndmask_b32_e64 v14, 0, 1, vcc_lo
	v_cmp_ne_u16_e32 vcc_lo, v12, v16
	v_lshrrev_b32_e32 v17, 16, v11
	s_delay_alu instid0(VALU_DEP_3) | instskip(SKIP_3) | instid1(VALU_DEP_4)
	v_lshlrev_b16 v14, 8, v14
	v_cndmask_b32_e64 v12, 0, 1, vcc_lo
	v_cmp_ne_u16_e32 vcc_lo, v9, v10
	v_lshrrev_b32_e32 v13, 16, v13
	v_dual_lshrrev_b32 v9, 16, v9 :: v_dual_lshrrev_b32 v14, 8, v14
	s_delay_alu instid0(VALU_DEP_4) | instskip(SKIP_2) | instid1(VALU_DEP_4)
	v_lshlrev_b16 v12, 8, v12
	v_cndmask_b32_e64 v10, 0, 1, vcc_lo
	v_cmp_ne_u16_e32 vcc_lo, v11, v15
	v_lshlrev_b16 v14, 8, v14
	s_delay_alu instid0(VALU_DEP_4) | instskip(NEXT) | instid1(VALU_DEP_4)
	v_lshrrev_b32_e32 v12, 8, v12
	v_lshlrev_b16 v10, 8, v10
	v_cndmask_b32_e64 v11, 0, 1, vcc_lo
	v_cmp_ne_u16_e32 vcc_lo, v8, v2
	s_delay_alu instid0(VALU_DEP_4) | instskip(NEXT) | instid1(VALU_DEP_4)
	v_lshlrev_b16 v12, 8, v12
	v_lshrrev_b32_e32 v10, 8, v10
	s_delay_alu instid0(VALU_DEP_4) | instskip(SKIP_2) | instid1(VALU_DEP_4)
	v_lshlrev_b16 v11, 8, v11
	v_cndmask_b32_e64 v8, 0, 1, vcc_lo
	v_cmp_ne_u16_e32 vcc_lo, v13, v3
	v_lshlrev_b16 v10, 8, v10
	s_delay_alu instid0(VALU_DEP_3) | instskip(SKIP_2) | instid1(VALU_DEP_3)
	v_dual_lshrrev_b32 v11, 8, v11 :: v_dual_bitop2_b32 v8, v8, v14 bitop3:0x54
	v_cndmask_b32_e64 v13, 0, 1, vcc_lo
	v_cmp_ne_u16_e32 vcc_lo, v18, v4
	v_lshlrev_b16 v11, 8, v11
	s_delay_alu instid0(VALU_DEP_4) | instskip(NEXT) | instid1(VALU_DEP_4)
	v_and_b32_e32 v8, 0xffff, v8
	v_or_b32_e32 v12, v13, v12
	v_cndmask_b32_e64 v15, 0, 1, vcc_lo
	v_cmp_ne_u16_e32 vcc_lo, v17, v5
	s_delay_alu instid0(VALU_DEP_2) | instskip(SKIP_2) | instid1(VALU_DEP_3)
	v_dual_lshlrev_b32 v12, 16, v12 :: v_dual_bitop2_b32 v11, v15, v11 bitop3:0x54
	v_cndmask_b32_e64 v16, 0, 1, vcc_lo
	v_cmp_ne_u16_e32 vcc_lo, v9, v7
	v_or_b32_e32 v9, v8, v12
	s_delay_alu instid0(VALU_DEP_4) | instskip(NEXT) | instid1(VALU_DEP_4)
	v_and_b32_e32 v11, 0xffff, v11
	v_or_b32_e32 v10, v16, v10
	s_delay_alu instid0(VALU_DEP_1) | instskip(SKIP_1) | instid1(VALU_DEP_2)
	v_lshlrev_b32_e32 v13, 16, v10
	v_cndmask_b32_e64 v10, 0, 1, vcc_lo
	v_or_b32_e32 v8, v11, v13
	s_branch .LBB72_8
.LBB72_4:
                                        ; implicit-def: $vgpr10
                                        ; implicit-def: $vgpr8
                                        ; implicit-def: $vgpr9
	s_cbranch_execz .LBB72_8
; %bb.5:
	s_wait_loadcnt 0x1
	v_alignbit_b32 v8, v3, v2, 16
	v_alignbit_b32 v10, v4, v3, 16
	v_dual_lshrrev_b32 v9, 16, v5 :: v_dual_lshrrev_b32 v12, 16, v3
	v_dual_lshrrev_b32 v13, 16, v4 :: v_dual_lshrrev_b32 v16, 16, v2
	s_delay_alu instid0(VALU_DEP_4) | instskip(NEXT) | instid1(VALU_DEP_4)
	v_pk_lshlrev_b16 v8, 1, v8 op_sel_hi:[0,1]
	v_pk_lshlrev_b16 v10, 1, v10 op_sel_hi:[0,1]
	v_lshlrev_b16 v15, 1, v2
	v_alignbit_b32 v11, v5, v4, 16
	s_mov_b32 s1, exec_lo
	s_delay_alu instid0(VALU_DEP_3)
	v_dual_lshrrev_b32 v14, 16, v8 :: v_dual_lshrrev_b32 v17, 16, v10
	s_wait_loadcnt 0x0
	ds_store_b16 v6, v7
	v_pk_lshlrev_b16 v11, 1, v11 op_sel_hi:[0,1]
	s_wait_dscnt 0x0
	v_cmp_ne_u16_e32 vcc_lo, v14, v12
	s_barrier_signal -1
	s_barrier_wait -1
	v_cndmask_b32_e64 v12, 0, 1, vcc_lo
	v_cmp_ne_u16_e32 vcc_lo, v15, v16
	s_delay_alu instid0(VALU_DEP_2) | instskip(SKIP_1) | instid1(VALU_DEP_2)
	v_lshlrev_b16 v12, 8, v12
	v_cndmask_b32_e64 v14, 0, 1, vcc_lo
	v_lshrrev_b32_e32 v12, 8, v12
	s_delay_alu instid0(VALU_DEP_2) | instskip(SKIP_1) | instid1(VALU_DEP_3)
	v_lshlrev_b16 v14, 8, v14
	v_lshrrev_b32_e32 v18, 16, v11
	v_lshlrev_b16 v12, 8, v12
	s_delay_alu instid0(VALU_DEP_3) | instskip(NEXT) | instid1(VALU_DEP_3)
	v_lshrrev_b32_e32 v14, 8, v14
	v_cmp_ne_u16_e32 vcc_lo, v18, v9
	s_delay_alu instid0(VALU_DEP_2) | instskip(SKIP_2) | instid1(VALU_DEP_2)
	v_lshlrev_b16 v14, 8, v14
	v_cndmask_b32_e64 v15, 0, 1, vcc_lo
	v_cmp_ne_u16_e32 vcc_lo, v17, v13
	v_lshlrev_b16 v15, 8, v15
	v_cndmask_b32_e64 v13, 0, 1, vcc_lo
	v_cmp_ne_u16_e32 vcc_lo, 0, v2
	s_delay_alu instid0(VALU_DEP_3) | instskip(NEXT) | instid1(VALU_DEP_3)
	v_lshrrev_b32_e32 v15, 8, v15
	v_lshlrev_b16 v13, 8, v13
	v_cndmask_b32_e64 v16, 0, 1, vcc_lo
	v_cmp_ne_u16_e32 vcc_lo, v8, v3
	s_delay_alu instid0(VALU_DEP_3)
	v_lshrrev_b32_e32 v13, 8, v13
	v_cndmask_b32_e64 v3, 0, 1, vcc_lo
	v_cmp_ne_u16_e32 vcc_lo, v10, v4
	v_lshlrev_b16 v10, 8, v15
	v_cndmask_b32_e64 v4, 0, 1, vcc_lo
	v_cmp_ne_u16_e32 vcc_lo, v11, v5
	v_or_b32_e32 v11, v16, v14
	v_lshlrev_b16 v8, 8, v13
	v_cndmask_b32_e64 v5, 0, 1, vcc_lo
	s_delay_alu instid0(VALU_DEP_1) | instskip(NEXT) | instid1(VALU_DEP_1)
	v_or_b32_e32 v5, v5, v10
	v_dual_lshlrev_b32 v5, 16, v5 :: v_dual_bitop2_b32 v3, v3, v12 bitop3:0x54
	s_delay_alu instid0(VALU_DEP_1) | instskip(SKIP_2) | instid1(VALU_DEP_3)
	v_dual_lshlrev_b32 v3, 16, v3 :: v_dual_bitop2_b32 v4, v4, v8 bitop3:0x54
	v_lshlrev_b16 v8, 1, v9
	v_and_b32_e32 v9, 0xffff, v11
	v_and_b32_e32 v4, 0xffff, v4
	s_delay_alu instid0(VALU_DEP_3) | instskip(NEXT) | instid1(VALU_DEP_3)
	v_cmp_ne_u16_e32 vcc_lo, v8, v7
	v_or_b32_e32 v9, v9, v3
	s_delay_alu instid0(VALU_DEP_3)
	v_or_b32_e32 v8, v4, v5
	v_cmpx_ne_u32_e32 0, v0
	s_cbranch_execz .LBB72_7
; %bb.6:
	s_delay_alu instid0(VALU_DEP_3)
	v_dual_add_nc_u32 v0, -2, v6 :: v_dual_lshrrev_b32 v3, 8, v9
	v_dual_lshrrev_b32 v4, 24, v9 :: v_dual_lshrrev_b32 v5, 16, v9
	ds_load_u16 v0, v0
	v_lshlrev_b16 v3, 8, v3
	s_wait_dscnt 0x0
	v_lshlrev_b16 v0, 1, v0
	s_delay_alu instid0(VALU_DEP_1) | instskip(SKIP_1) | instid1(VALU_DEP_2)
	v_cmp_ne_u16_e64 s0, v0, v2
	v_lshlrev_b16 v2, 8, v4
	v_cndmask_b32_e64 v0, 0, 1, s0
	s_delay_alu instid0(VALU_DEP_2) | instskip(NEXT) | instid1(VALU_DEP_1)
	v_bitop3_b16 v2, v5, v2, 0xff bitop3:0xec
	v_dual_lshlrev_b32 v2, 16, v2 :: v_dual_bitop2_b32 v0, v0, v3 bitop3:0x54
	s_delay_alu instid0(VALU_DEP_1) | instskip(NEXT) | instid1(VALU_DEP_1)
	v_and_b32_e32 v0, 0xffff, v0
	v_or_b32_e32 v9, v0, v2
.LBB72_7:
	s_or_b32 exec_lo, exec_lo, s1
	v_cndmask_b32_e64 v10, 0, 1, vcc_lo
.LBB72_8:
	s_delay_alu instid0(VALU_DEP_1)
	v_dual_lshlrev_b32 v0, 2, v1 :: v_dual_lshrrev_b32 v15, 24, v8
	v_and_b32_e32 v12, 0xff, v8
	v_bfe_u32 v13, v8, 8, 8
	v_bfe_u32 v14, v8, 16, 8
	s_lshl_b64 s[0:1], s[4:5], 2
	s_wait_loadcnt 0x1
	v_and_b32_e32 v2, 0xff, v9
	v_bfe_u32 v3, v9, 8, 8
	v_lshrrev_b32_e32 v5, 24, v9
	v_bfe_u32 v4, v9, 16, 8
	v_and_b32_e32 v6, 0xff, v10
	s_add_nc_u64 s[0:1], s[2:3], s[0:1]
	s_clause 0x2
	global_store_b128 v0, v[12:15], s[0:1] offset:16
	global_store_b128 v0, v[2:5], s[0:1]
	global_store_b32 v1, v6, s[0:1] offset:32 scale_offset
	s_endpgm
	.section	.rodata,"a",@progbits
	.p2align	6, 0x0
	.amdhsa_kernel _Z20subtract_left_kernelIsbi10custom_op2Lj234ELj9EEvPKT_PT1_
		.amdhsa_group_segment_fixed_size 936
		.amdhsa_private_segment_fixed_size 0
		.amdhsa_kernarg_size 16
		.amdhsa_user_sgpr_count 2
		.amdhsa_user_sgpr_dispatch_ptr 0
		.amdhsa_user_sgpr_queue_ptr 0
		.amdhsa_user_sgpr_kernarg_segment_ptr 1
		.amdhsa_user_sgpr_dispatch_id 0
		.amdhsa_user_sgpr_kernarg_preload_length 0
		.amdhsa_user_sgpr_kernarg_preload_offset 0
		.amdhsa_user_sgpr_private_segment_size 0
		.amdhsa_wavefront_size32 1
		.amdhsa_uses_dynamic_stack 0
		.amdhsa_enable_private_segment 0
		.amdhsa_system_sgpr_workgroup_id_x 1
		.amdhsa_system_sgpr_workgroup_id_y 0
		.amdhsa_system_sgpr_workgroup_id_z 0
		.amdhsa_system_sgpr_workgroup_info 0
		.amdhsa_system_vgpr_workitem_id 0
		.amdhsa_next_free_vgpr 19
		.amdhsa_next_free_sgpr 9
		.amdhsa_named_barrier_count 0
		.amdhsa_reserve_vcc 1
		.amdhsa_float_round_mode_32 0
		.amdhsa_float_round_mode_16_64 0
		.amdhsa_float_denorm_mode_32 3
		.amdhsa_float_denorm_mode_16_64 3
		.amdhsa_fp16_overflow 0
		.amdhsa_memory_ordered 1
		.amdhsa_forward_progress 1
		.amdhsa_inst_pref_size 10
		.amdhsa_round_robin_scheduling 0
		.amdhsa_exception_fp_ieee_invalid_op 0
		.amdhsa_exception_fp_denorm_src 0
		.amdhsa_exception_fp_ieee_div_zero 0
		.amdhsa_exception_fp_ieee_overflow 0
		.amdhsa_exception_fp_ieee_underflow 0
		.amdhsa_exception_fp_ieee_inexact 0
		.amdhsa_exception_int_div_zero 0
	.end_amdhsa_kernel
	.section	.text._Z20subtract_left_kernelIsbi10custom_op2Lj234ELj9EEvPKT_PT1_,"axG",@progbits,_Z20subtract_left_kernelIsbi10custom_op2Lj234ELj9EEvPKT_PT1_,comdat
.Lfunc_end72:
	.size	_Z20subtract_left_kernelIsbi10custom_op2Lj234ELj9EEvPKT_PT1_, .Lfunc_end72-_Z20subtract_left_kernelIsbi10custom_op2Lj234ELj9EEvPKT_PT1_
                                        ; -- End function
	.set _Z20subtract_left_kernelIsbi10custom_op2Lj234ELj9EEvPKT_PT1_.num_vgpr, 19
	.set _Z20subtract_left_kernelIsbi10custom_op2Lj234ELj9EEvPKT_PT1_.num_agpr, 0
	.set _Z20subtract_left_kernelIsbi10custom_op2Lj234ELj9EEvPKT_PT1_.numbered_sgpr, 9
	.set _Z20subtract_left_kernelIsbi10custom_op2Lj234ELj9EEvPKT_PT1_.num_named_barrier, 0
	.set _Z20subtract_left_kernelIsbi10custom_op2Lj234ELj9EEvPKT_PT1_.private_seg_size, 0
	.set _Z20subtract_left_kernelIsbi10custom_op2Lj234ELj9EEvPKT_PT1_.uses_vcc, 1
	.set _Z20subtract_left_kernelIsbi10custom_op2Lj234ELj9EEvPKT_PT1_.uses_flat_scratch, 0
	.set _Z20subtract_left_kernelIsbi10custom_op2Lj234ELj9EEvPKT_PT1_.has_dyn_sized_stack, 0
	.set _Z20subtract_left_kernelIsbi10custom_op2Lj234ELj9EEvPKT_PT1_.has_recursion, 0
	.set _Z20subtract_left_kernelIsbi10custom_op2Lj234ELj9EEvPKT_PT1_.has_indirect_call, 0
	.section	.AMDGPU.csdata,"",@progbits
; Kernel info:
; codeLenInByte = 1276
; TotalNumSgprs: 11
; NumVgprs: 19
; ScratchSize: 0
; MemoryBound: 0
; FloatMode: 240
; IeeeMode: 1
; LDSByteSize: 936 bytes/workgroup (compile time only)
; SGPRBlocks: 0
; VGPRBlocks: 1
; NumSGPRsForWavesPerEU: 11
; NumVGPRsForWavesPerEU: 19
; NamedBarCnt: 0
; Occupancy: 16
; WaveLimiterHint : 0
; COMPUTE_PGM_RSRC2:SCRATCH_EN: 0
; COMPUTE_PGM_RSRC2:USER_SGPR: 2
; COMPUTE_PGM_RSRC2:TRAP_HANDLER: 0
; COMPUTE_PGM_RSRC2:TGID_X_EN: 1
; COMPUTE_PGM_RSRC2:TGID_Y_EN: 0
; COMPUTE_PGM_RSRC2:TGID_Z_EN: 0
; COMPUTE_PGM_RSRC2:TIDIG_COMP_CNT: 0
	.section	.text._Z20subtract_left_kernelItii10custom_op1Lj100ELj3EEvPKT_PT1_,"axG",@progbits,_Z20subtract_left_kernelItii10custom_op1Lj100ELj3EEvPKT_PT1_,comdat
	.protected	_Z20subtract_left_kernelItii10custom_op1Lj100ELj3EEvPKT_PT1_ ; -- Begin function _Z20subtract_left_kernelItii10custom_op1Lj100ELj3EEvPKT_PT1_
	.globl	_Z20subtract_left_kernelItii10custom_op1Lj100ELj3EEvPKT_PT1_
	.p2align	8
	.type	_Z20subtract_left_kernelItii10custom_op1Lj100ELj3EEvPKT_PT1_,@function
_Z20subtract_left_kernelItii10custom_op1Lj100ELj3EEvPKT_PT1_: ; @_Z20subtract_left_kernelItii10custom_op1Lj100ELj3EEvPKT_PT1_
; %bb.0:
	s_load_b128 s[4:7], s[0:1], 0x0
	s_wait_xcnt 0x0
	s_bfe_u32 s0, ttmp6, 0x4000c
	s_and_b32 s1, ttmp6, 15
	s_add_co_i32 s0, s0, 1
	s_getreg_b32 s2, hwreg(HW_REG_IB_STS2, 6, 4)
	s_mul_i32 s0, ttmp9, s0
	v_mul_u32_u24_e32 v3, 3, v0
	s_add_co_i32 s1, s1, s0
	s_cmp_eq_u32 s2, 0
	s_mov_b32 s3, 0
	s_cselect_b32 s8, ttmp9, s1
	v_dual_lshlrev_b32 v1, 1, v3 :: v_dual_lshlrev_b32 v5, 1, v0
	s_mul_i32 s2, s8, 0x12c
	s_delay_alu instid0(SALU_CYCLE_1)
	s_lshl_b64 s[0:1], s[2:3], 1
	s_bitcmp0_b32 s8, 0
	s_wait_kmcnt 0x0
	s_add_nc_u64 s[0:1], s[4:5], s[0:1]
	s_clause 0x1
	global_load_b32 v4, v1, s[0:1]
	global_load_b32 v6, v1, s[0:1] offset:2
	s_wait_xcnt 0x0
	v_cmp_ne_u32_e64 s0, 0, v0
	s_cbranch_scc1 .LBB73_4
; %bb.1:
	s_add_co_i32 s1, s2, -1
	s_wait_loadcnt 0x0
	ds_store_b16_d16_hi v5, v6
	v_mov_b32_e32 v0, s1
	global_load_u16 v0, v0, s[4:5] scale_offset
	s_wait_loadcnt_dscnt 0x0
	s_barrier_signal -1
	s_barrier_wait -1
	s_and_saveexec_b32 s1, s0
; %bb.2:
	v_add_nc_u32_e32 v0, -2, v5
	ds_load_u16 v0, v0
; %bb.3:
	s_or_b32 exec_lo, exec_lo, s1
	v_alignbit_b32 v1, s0, v6, 16
	v_pk_sub_i16 v2, v6, v4
	s_wait_dscnt 0x0
	v_sub_nc_u16 v0, v4, v0
	s_delay_alu instid0(VALU_DEP_3) | instskip(NEXT) | instid1(VALU_DEP_3)
	v_pk_sub_i16 v7, v1, v6
	v_and_b32_e32 v1, 0xffff, v2
	s_delay_alu instid0(VALU_DEP_3) | instskip(NEXT) | instid1(VALU_DEP_3)
	v_and_b32_e32 v0, 0xffff, v0
	v_and_b32_e32 v2, 0xffff, v7
	s_branch .LBB73_8
.LBB73_4:
                                        ; implicit-def: $vgpr2
	s_cbranch_execz .LBB73_8
; %bb.5:
	s_wait_loadcnt 0x0
	v_pk_sub_i16 v0, v6, v4
	ds_store_b16_d16_hi v5, v6
	s_wait_dscnt 0x0
	s_barrier_signal -1
	s_barrier_wait -1
	v_lshrrev_b32_e32 v2, 16, v0
	v_and_b32_e32 v1, 0xffff, v0
	v_and_b32_e32 v0, 0xffff, v4
	s_and_saveexec_b32 s1, s0
	s_cbranch_execz .LBB73_7
; %bb.6:
	v_add_nc_u32_e32 v0, -2, v5
	ds_load_u16 v0, v0
	s_wait_dscnt 0x0
	v_sub_nc_u16 v0, v4, v0
	s_delay_alu instid0(VALU_DEP_1)
	v_and_b32_e32 v0, 0xffff, v0
.LBB73_7:
	s_or_b32 exec_lo, exec_lo, s1
.LBB73_8:
	v_lshlrev_b32_e32 v3, 2, v3
	s_lshl_b64 s[0:1], s[2:3], 2
	s_delay_alu instid0(SALU_CYCLE_1)
	s_add_nc_u64 s[0:1], s[6:7], s[0:1]
	global_store_b96 v3, v[0:2], s[0:1]
	s_endpgm
	.section	.rodata,"a",@progbits
	.p2align	6, 0x0
	.amdhsa_kernel _Z20subtract_left_kernelItii10custom_op1Lj100ELj3EEvPKT_PT1_
		.amdhsa_group_segment_fixed_size 400
		.amdhsa_private_segment_fixed_size 0
		.amdhsa_kernarg_size 16
		.amdhsa_user_sgpr_count 2
		.amdhsa_user_sgpr_dispatch_ptr 0
		.amdhsa_user_sgpr_queue_ptr 0
		.amdhsa_user_sgpr_kernarg_segment_ptr 1
		.amdhsa_user_sgpr_dispatch_id 0
		.amdhsa_user_sgpr_kernarg_preload_length 0
		.amdhsa_user_sgpr_kernarg_preload_offset 0
		.amdhsa_user_sgpr_private_segment_size 0
		.amdhsa_wavefront_size32 1
		.amdhsa_uses_dynamic_stack 0
		.amdhsa_enable_private_segment 0
		.amdhsa_system_sgpr_workgroup_id_x 1
		.amdhsa_system_sgpr_workgroup_id_y 0
		.amdhsa_system_sgpr_workgroup_id_z 0
		.amdhsa_system_sgpr_workgroup_info 0
		.amdhsa_system_vgpr_workitem_id 0
		.amdhsa_next_free_vgpr 8
		.amdhsa_next_free_sgpr 9
		.amdhsa_named_barrier_count 0
		.amdhsa_reserve_vcc 0
		.amdhsa_float_round_mode_32 0
		.amdhsa_float_round_mode_16_64 0
		.amdhsa_float_denorm_mode_32 3
		.amdhsa_float_denorm_mode_16_64 3
		.amdhsa_fp16_overflow 0
		.amdhsa_memory_ordered 1
		.amdhsa_forward_progress 1
		.amdhsa_inst_pref_size 4
		.amdhsa_round_robin_scheduling 0
		.amdhsa_exception_fp_ieee_invalid_op 0
		.amdhsa_exception_fp_denorm_src 0
		.amdhsa_exception_fp_ieee_div_zero 0
		.amdhsa_exception_fp_ieee_overflow 0
		.amdhsa_exception_fp_ieee_underflow 0
		.amdhsa_exception_fp_ieee_inexact 0
		.amdhsa_exception_int_div_zero 0
	.end_amdhsa_kernel
	.section	.text._Z20subtract_left_kernelItii10custom_op1Lj100ELj3EEvPKT_PT1_,"axG",@progbits,_Z20subtract_left_kernelItii10custom_op1Lj100ELj3EEvPKT_PT1_,comdat
.Lfunc_end73:
	.size	_Z20subtract_left_kernelItii10custom_op1Lj100ELj3EEvPKT_PT1_, .Lfunc_end73-_Z20subtract_left_kernelItii10custom_op1Lj100ELj3EEvPKT_PT1_
                                        ; -- End function
	.set _Z20subtract_left_kernelItii10custom_op1Lj100ELj3EEvPKT_PT1_.num_vgpr, 8
	.set _Z20subtract_left_kernelItii10custom_op1Lj100ELj3EEvPKT_PT1_.num_agpr, 0
	.set _Z20subtract_left_kernelItii10custom_op1Lj100ELj3EEvPKT_PT1_.numbered_sgpr, 9
	.set _Z20subtract_left_kernelItii10custom_op1Lj100ELj3EEvPKT_PT1_.num_named_barrier, 0
	.set _Z20subtract_left_kernelItii10custom_op1Lj100ELj3EEvPKT_PT1_.private_seg_size, 0
	.set _Z20subtract_left_kernelItii10custom_op1Lj100ELj3EEvPKT_PT1_.uses_vcc, 0
	.set _Z20subtract_left_kernelItii10custom_op1Lj100ELj3EEvPKT_PT1_.uses_flat_scratch, 0
	.set _Z20subtract_left_kernelItii10custom_op1Lj100ELj3EEvPKT_PT1_.has_dyn_sized_stack, 0
	.set _Z20subtract_left_kernelItii10custom_op1Lj100ELj3EEvPKT_PT1_.has_recursion, 0
	.set _Z20subtract_left_kernelItii10custom_op1Lj100ELj3EEvPKT_PT1_.has_indirect_call, 0
	.section	.AMDGPU.csdata,"",@progbits
; Kernel info:
; codeLenInByte = 412
; TotalNumSgprs: 9
; NumVgprs: 8
; ScratchSize: 0
; MemoryBound: 0
; FloatMode: 240
; IeeeMode: 1
; LDSByteSize: 400 bytes/workgroup (compile time only)
; SGPRBlocks: 0
; VGPRBlocks: 0
; NumSGPRsForWavesPerEU: 9
; NumVGPRsForWavesPerEU: 8
; NamedBarCnt: 0
; Occupancy: 16
; WaveLimiterHint : 0
; COMPUTE_PGM_RSRC2:SCRATCH_EN: 0
; COMPUTE_PGM_RSRC2:USER_SGPR: 2
; COMPUTE_PGM_RSRC2:TRAP_HANDLER: 0
; COMPUTE_PGM_RSRC2:TGID_X_EN: 1
; COMPUTE_PGM_RSRC2:TGID_Y_EN: 0
; COMPUTE_PGM_RSRC2:TGID_Z_EN: 0
; COMPUTE_PGM_RSRC2:TIDIG_COMP_CNT: 0
	.section	.text._Z20subtract_left_kernelIdjjN6hipcub3SumELj464ELj2EEvPKT_PT1_,"axG",@progbits,_Z20subtract_left_kernelIdjjN6hipcub3SumELj464ELj2EEvPKT_PT1_,comdat
	.protected	_Z20subtract_left_kernelIdjjN6hipcub3SumELj464ELj2EEvPKT_PT1_ ; -- Begin function _Z20subtract_left_kernelIdjjN6hipcub3SumELj464ELj2EEvPKT_PT1_
	.globl	_Z20subtract_left_kernelIdjjN6hipcub3SumELj464ELj2EEvPKT_PT1_
	.p2align	8
	.type	_Z20subtract_left_kernelIdjjN6hipcub3SumELj464ELj2EEvPKT_PT1_,@function
_Z20subtract_left_kernelIdjjN6hipcub3SumELj464ELj2EEvPKT_PT1_: ; @_Z20subtract_left_kernelIdjjN6hipcub3SumELj464ELj2EEvPKT_PT1_
; %bb.0:
	s_load_b128 s[0:3], s[0:1], 0x0
	s_bfe_u32 s4, ttmp6, 0x4000c
	s_and_b32 s5, ttmp6, 15
	s_add_co_i32 s4, s4, 1
	s_getreg_b32 s6, hwreg(HW_REG_IB_STS2, 6, 4)
	s_mul_i32 s4, ttmp9, s4
	v_dual_lshlrev_b32 v1, 1, v0 :: v_dual_lshlrev_b32 v8, 3, v0
	s_add_co_i32 s5, s5, s4
	s_cmp_eq_u32 s6, 0
	v_cmp_ne_u32_e32 vcc_lo, 0, v0
	s_cselect_b32 s8, ttmp9, s5
	s_mov_b32 s5, 0
	s_mul_i32 s4, s8, 0x3a0
	s_delay_alu instid0(SALU_CYCLE_1)
	s_lshl_b64 s[6:7], s[4:5], 3
	s_bitcmp0_b32 s8, 0
	s_wait_kmcnt 0x0
	s_add_nc_u64 s[6:7], s[0:1], s[6:7]
	global_load_b128 v[2:5], v0, s[6:7] scale_offset
	s_cbranch_scc1 .LBB74_4
; %bb.1:
	s_wait_xcnt 0x0
	s_add_co_i32 s6, s4, -1
	s_wait_loadcnt 0x0
	ds_store_b64 v8, v[4:5]
	s_load_b64 s[0:1], s[0:1], s6 offset:0x0 scale_offset
	s_wait_dscnt 0x0
	s_barrier_signal -1
	s_barrier_wait -1
	s_wait_kmcnt 0x0
	v_mov_b64_e32 v[6:7], s[0:1]
	s_and_saveexec_b32 s0, vcc_lo
; %bb.2:
	v_add_nc_u32_e32 v6, -8, v8
	ds_load_b64 v[6:7], v6
; %bb.3:
	s_or_b32 exec_lo, exec_lo, s0
	v_add_f64_e32 v[10:11], v[2:3], v[4:5]
	s_wait_dscnt 0x0
	v_add_f64_e32 v[12:13], v[2:3], v[6:7]
	s_delay_alu instid0(VALU_DEP_2) | instskip(NEXT) | instid1(VALU_DEP_2)
	v_cvt_u32_f64_e32 v7, v[10:11]
	v_cvt_u32_f64_e32 v6, v[12:13]
	s_branch .LBB74_8
.LBB74_4:
                                        ; implicit-def: $vgpr6_vgpr7
	s_cbranch_execz .LBB74_8
; %bb.5:
	s_wait_loadcnt 0x0
	v_add_f64_e32 v[6:7], v[2:3], v[4:5]
	s_mov_b32 s0, exec_lo
	ds_store_b64 v8, v[4:5]
	s_wait_dscnt 0x0
	s_barrier_signal -1
	s_barrier_wait -1
	v_cvt_u32_f64_e32 v7, v[6:7]
	v_cvt_u32_f64_e32 v6, v[2:3]
	v_cmpx_ne_u32_e32 0, v0
	s_cbranch_execz .LBB74_7
; %bb.6:
	v_add_nc_u32_e32 v0, -8, v8
	ds_load_b64 v[4:5], v0
	s_wait_dscnt 0x0
	v_add_f64_e32 v[2:3], v[2:3], v[4:5]
	s_delay_alu instid0(VALU_DEP_1)
	v_cvt_u32_f64_e32 v6, v[2:3]
.LBB74_7:
	s_or_b32 exec_lo, exec_lo, s0
.LBB74_8:
	s_wait_xcnt 0x0
	v_lshlrev_b32_e32 v0, 2, v1
	s_lshl_b64 s[0:1], s[4:5], 2
	s_delay_alu instid0(SALU_CYCLE_1)
	s_add_nc_u64 s[0:1], s[2:3], s[0:1]
	global_store_b64 v0, v[6:7], s[0:1]
	s_endpgm
	.section	.rodata,"a",@progbits
	.p2align	6, 0x0
	.amdhsa_kernel _Z20subtract_left_kernelIdjjN6hipcub3SumELj464ELj2EEvPKT_PT1_
		.amdhsa_group_segment_fixed_size 7424
		.amdhsa_private_segment_fixed_size 0
		.amdhsa_kernarg_size 16
		.amdhsa_user_sgpr_count 2
		.amdhsa_user_sgpr_dispatch_ptr 0
		.amdhsa_user_sgpr_queue_ptr 0
		.amdhsa_user_sgpr_kernarg_segment_ptr 1
		.amdhsa_user_sgpr_dispatch_id 0
		.amdhsa_user_sgpr_kernarg_preload_length 0
		.amdhsa_user_sgpr_kernarg_preload_offset 0
		.amdhsa_user_sgpr_private_segment_size 0
		.amdhsa_wavefront_size32 1
		.amdhsa_uses_dynamic_stack 0
		.amdhsa_enable_private_segment 0
		.amdhsa_system_sgpr_workgroup_id_x 1
		.amdhsa_system_sgpr_workgroup_id_y 0
		.amdhsa_system_sgpr_workgroup_id_z 0
		.amdhsa_system_sgpr_workgroup_info 0
		.amdhsa_system_vgpr_workitem_id 0
		.amdhsa_next_free_vgpr 14
		.amdhsa_next_free_sgpr 9
		.amdhsa_named_barrier_count 0
		.amdhsa_reserve_vcc 1
		.amdhsa_float_round_mode_32 0
		.amdhsa_float_round_mode_16_64 0
		.amdhsa_float_denorm_mode_32 3
		.amdhsa_float_denorm_mode_16_64 3
		.amdhsa_fp16_overflow 0
		.amdhsa_memory_ordered 1
		.amdhsa_forward_progress 1
		.amdhsa_inst_pref_size 3
		.amdhsa_round_robin_scheduling 0
		.amdhsa_exception_fp_ieee_invalid_op 0
		.amdhsa_exception_fp_denorm_src 0
		.amdhsa_exception_fp_ieee_div_zero 0
		.amdhsa_exception_fp_ieee_overflow 0
		.amdhsa_exception_fp_ieee_underflow 0
		.amdhsa_exception_fp_ieee_inexact 0
		.amdhsa_exception_int_div_zero 0
	.end_amdhsa_kernel
	.section	.text._Z20subtract_left_kernelIdjjN6hipcub3SumELj464ELj2EEvPKT_PT1_,"axG",@progbits,_Z20subtract_left_kernelIdjjN6hipcub3SumELj464ELj2EEvPKT_PT1_,comdat
.Lfunc_end74:
	.size	_Z20subtract_left_kernelIdjjN6hipcub3SumELj464ELj2EEvPKT_PT1_, .Lfunc_end74-_Z20subtract_left_kernelIdjjN6hipcub3SumELj464ELj2EEvPKT_PT1_
                                        ; -- End function
	.set _Z20subtract_left_kernelIdjjN6hipcub3SumELj464ELj2EEvPKT_PT1_.num_vgpr, 14
	.set _Z20subtract_left_kernelIdjjN6hipcub3SumELj464ELj2EEvPKT_PT1_.num_agpr, 0
	.set _Z20subtract_left_kernelIdjjN6hipcub3SumELj464ELj2EEvPKT_PT1_.numbered_sgpr, 9
	.set _Z20subtract_left_kernelIdjjN6hipcub3SumELj464ELj2EEvPKT_PT1_.num_named_barrier, 0
	.set _Z20subtract_left_kernelIdjjN6hipcub3SumELj464ELj2EEvPKT_PT1_.private_seg_size, 0
	.set _Z20subtract_left_kernelIdjjN6hipcub3SumELj464ELj2EEvPKT_PT1_.uses_vcc, 1
	.set _Z20subtract_left_kernelIdjjN6hipcub3SumELj464ELj2EEvPKT_PT1_.uses_flat_scratch, 0
	.set _Z20subtract_left_kernelIdjjN6hipcub3SumELj464ELj2EEvPKT_PT1_.has_dyn_sized_stack, 0
	.set _Z20subtract_left_kernelIdjjN6hipcub3SumELj464ELj2EEvPKT_PT1_.has_recursion, 0
	.set _Z20subtract_left_kernelIdjjN6hipcub3SumELj464ELj2EEvPKT_PT1_.has_indirect_call, 0
	.section	.AMDGPU.csdata,"",@progbits
; Kernel info:
; codeLenInByte = 324
; TotalNumSgprs: 11
; NumVgprs: 14
; ScratchSize: 0
; MemoryBound: 0
; FloatMode: 240
; IeeeMode: 1
; LDSByteSize: 7424 bytes/workgroup (compile time only)
; SGPRBlocks: 0
; VGPRBlocks: 0
; NumSGPRsForWavesPerEU: 11
; NumVGPRsForWavesPerEU: 14
; NamedBarCnt: 0
; Occupancy: 15
; WaveLimiterHint : 0
; COMPUTE_PGM_RSRC2:SCRATCH_EN: 0
; COMPUTE_PGM_RSRC2:USER_SGPR: 2
; COMPUTE_PGM_RSRC2:TRAP_HANDLER: 0
; COMPUTE_PGM_RSRC2:TGID_X_EN: 1
; COMPUTE_PGM_RSRC2:TGID_Y_EN: 0
; COMPUTE_PGM_RSRC2:TGID_Z_EN: 0
; COMPUTE_PGM_RSRC2:TIDIG_COMP_CNT: 0
	.section	.text._Z20subtract_left_kernelIdii10custom_op2Lj33ELj5EEvPKT_PT1_,"axG",@progbits,_Z20subtract_left_kernelIdii10custom_op2Lj33ELj5EEvPKT_PT1_,comdat
	.protected	_Z20subtract_left_kernelIdii10custom_op2Lj33ELj5EEvPKT_PT1_ ; -- Begin function _Z20subtract_left_kernelIdii10custom_op2Lj33ELj5EEvPKT_PT1_
	.globl	_Z20subtract_left_kernelIdii10custom_op2Lj33ELj5EEvPKT_PT1_
	.p2align	8
	.type	_Z20subtract_left_kernelIdii10custom_op2Lj33ELj5EEvPKT_PT1_,@function
_Z20subtract_left_kernelIdii10custom_op2Lj33ELj5EEvPKT_PT1_: ; @_Z20subtract_left_kernelIdii10custom_op2Lj33ELj5EEvPKT_PT1_
; %bb.0:
	s_load_b128 s[0:3], s[0:1], 0x0
	s_bfe_u32 s4, ttmp6, 0x4000c
	s_and_b32 s5, ttmp6, 15
	s_add_co_i32 s4, s4, 1
	s_getreg_b32 s6, hwreg(HW_REG_IB_STS2, 6, 4)
	s_mul_i32 s4, ttmp9, s4
	v_mul_u32_u24_e32 v1, 5, v0
	s_add_co_i32 s5, s5, s4
	s_cmp_eq_u32 s6, 0
	v_lshlrev_b32_e32 v18, 3, v0
	s_cselect_b32 s8, ttmp9, s5
	s_mov_b32 s5, 0
	s_mul_i32 s4, s8, 0xa5
	v_lshlrev_b32_e32 v14, 3, v1
	s_lshl_b64 s[6:7], s[4:5], 3
	s_bitcmp0_b32 s8, 0
	v_cmp_ne_u32_e32 vcc_lo, 0, v0
	s_wait_kmcnt 0x0
	s_add_nc_u64 s[6:7], s[0:1], s[6:7]
	s_clause 0x2
	global_load_b128 v[6:9], v14, s[6:7] offset:24
	global_load_b128 v[2:5], v14, s[6:7]
	global_load_b128 v[10:13], v14, s[6:7] offset:8
	s_cbranch_scc1 .LBB75_4
; %bb.1:
	s_wait_xcnt 0x0
	s_add_co_i32 s6, s4, -1
	s_wait_loadcnt 0x2
	ds_store_b64 v18, v[8:9]
	s_load_b64 s[0:1], s[0:1], s6 offset:0x0 scale_offset
	s_wait_loadcnt_dscnt 0x0
	s_barrier_signal -1
	s_barrier_wait -1
	s_wait_kmcnt 0x0
	v_mov_b64_e32 v[14:15], s[0:1]
	s_and_saveexec_b32 s0, vcc_lo
; %bb.2:
	v_add_nc_u32_e32 v14, -8, v18
	ds_load_b64 v[14:15], v14
; %bb.3:
	s_or_b32 exec_lo, exec_lo, s0
	v_fma_f64 v[16:17], v[6:7], 2.0, -v[8:9]
	v_fma_f64 v[20:21], v[12:13], 2.0, -v[6:7]
	;; [unrolled: 1-line block ×4, first 2 shown]
	s_wait_dscnt 0x0
	v_fma_f64 v[26:27], v[14:15], 2.0, -v[2:3]
	v_cvt_i32_f64_e32 v19, v[16:17]
	v_cvt_i32_f64_e32 v17, v[20:21]
	;; [unrolled: 1-line block ×5, first 2 shown]
	s_branch .LBB75_8
.LBB75_4:
                                        ; implicit-def: $vgpr19
                                        ; implicit-def: $vgpr17
	s_cbranch_execz .LBB75_8
; %bb.5:
	s_wait_loadcnt 0x2
	s_wait_xcnt 0x0
	v_fma_f64 v[14:15], v[6:7], 2.0, -v[8:9]
	s_wait_loadcnt 0x0
	v_fma_f64 v[6:7], v[12:13], 2.0, -v[6:7]
	v_fma_f64 v[4:5], v[4:5], 2.0, -v[12:13]
	v_fma_f64 v[10:11], v[2:3], 2.0, -v[10:11]
	s_mov_b32 s0, exec_lo
	ds_store_b64 v18, v[8:9]
	s_wait_dscnt 0x0
	s_barrier_signal -1
	s_barrier_wait -1
	v_cvt_i32_f64_e32 v19, v[14:15]
	v_cvt_i32_f64_e32 v17, v[6:7]
	v_cvt_i32_f64_e32 v16, v[4:5]
	v_cvt_i32_f64_e32 v15, v[10:11]
	v_cvt_i32_f64_e32 v14, v[2:3]
	v_cmpx_ne_u32_e32 0, v0
	s_cbranch_execz .LBB75_7
; %bb.6:
	v_add_nc_u32_e32 v0, -8, v18
	ds_load_b64 v[4:5], v0
	s_wait_dscnt 0x0
	v_fma_f64 v[2:3], v[4:5], 2.0, -v[2:3]
	s_delay_alu instid0(VALU_DEP_1)
	v_cvt_i32_f64_e32 v14, v[2:3]
.LBB75_7:
	s_or_b32 exec_lo, exec_lo, s0
.LBB75_8:
	v_lshlrev_b32_e32 v0, 2, v1
	s_lshl_b64 s[0:1], s[4:5], 2
	s_delay_alu instid0(SALU_CYCLE_1)
	s_add_nc_u64 s[0:1], s[2:3], s[0:1]
	s_clause 0x1
	global_store_b128 v0, v[14:17], s[0:1]
	global_store_b32 v1, v19, s[0:1] offset:16 scale_offset
	s_endpgm
	.section	.rodata,"a",@progbits
	.p2align	6, 0x0
	.amdhsa_kernel _Z20subtract_left_kernelIdii10custom_op2Lj33ELj5EEvPKT_PT1_
		.amdhsa_group_segment_fixed_size 528
		.amdhsa_private_segment_fixed_size 0
		.amdhsa_kernarg_size 16
		.amdhsa_user_sgpr_count 2
		.amdhsa_user_sgpr_dispatch_ptr 0
		.amdhsa_user_sgpr_queue_ptr 0
		.amdhsa_user_sgpr_kernarg_segment_ptr 1
		.amdhsa_user_sgpr_dispatch_id 0
		.amdhsa_user_sgpr_kernarg_preload_length 0
		.amdhsa_user_sgpr_kernarg_preload_offset 0
		.amdhsa_user_sgpr_private_segment_size 0
		.amdhsa_wavefront_size32 1
		.amdhsa_uses_dynamic_stack 0
		.amdhsa_enable_private_segment 0
		.amdhsa_system_sgpr_workgroup_id_x 1
		.amdhsa_system_sgpr_workgroup_id_y 0
		.amdhsa_system_sgpr_workgroup_id_z 0
		.amdhsa_system_sgpr_workgroup_info 0
		.amdhsa_system_vgpr_workitem_id 0
		.amdhsa_next_free_vgpr 28
		.amdhsa_next_free_sgpr 9
		.amdhsa_named_barrier_count 0
		.amdhsa_reserve_vcc 1
		.amdhsa_float_round_mode_32 0
		.amdhsa_float_round_mode_16_64 0
		.amdhsa_float_denorm_mode_32 3
		.amdhsa_float_denorm_mode_16_64 3
		.amdhsa_fp16_overflow 0
		.amdhsa_memory_ordered 1
		.amdhsa_forward_progress 1
		.amdhsa_inst_pref_size 4
		.amdhsa_round_robin_scheduling 0
		.amdhsa_exception_fp_ieee_invalid_op 0
		.amdhsa_exception_fp_denorm_src 0
		.amdhsa_exception_fp_ieee_div_zero 0
		.amdhsa_exception_fp_ieee_overflow 0
		.amdhsa_exception_fp_ieee_underflow 0
		.amdhsa_exception_fp_ieee_inexact 0
		.amdhsa_exception_int_div_zero 0
	.end_amdhsa_kernel
	.section	.text._Z20subtract_left_kernelIdii10custom_op2Lj33ELj5EEvPKT_PT1_,"axG",@progbits,_Z20subtract_left_kernelIdii10custom_op2Lj33ELj5EEvPKT_PT1_,comdat
.Lfunc_end75:
	.size	_Z20subtract_left_kernelIdii10custom_op2Lj33ELj5EEvPKT_PT1_, .Lfunc_end75-_Z20subtract_left_kernelIdii10custom_op2Lj33ELj5EEvPKT_PT1_
                                        ; -- End function
	.set _Z20subtract_left_kernelIdii10custom_op2Lj33ELj5EEvPKT_PT1_.num_vgpr, 28
	.set _Z20subtract_left_kernelIdii10custom_op2Lj33ELj5EEvPKT_PT1_.num_agpr, 0
	.set _Z20subtract_left_kernelIdii10custom_op2Lj33ELj5EEvPKT_PT1_.numbered_sgpr, 9
	.set _Z20subtract_left_kernelIdii10custom_op2Lj33ELj5EEvPKT_PT1_.num_named_barrier, 0
	.set _Z20subtract_left_kernelIdii10custom_op2Lj33ELj5EEvPKT_PT1_.private_seg_size, 0
	.set _Z20subtract_left_kernelIdii10custom_op2Lj33ELj5EEvPKT_PT1_.uses_vcc, 1
	.set _Z20subtract_left_kernelIdii10custom_op2Lj33ELj5EEvPKT_PT1_.uses_flat_scratch, 0
	.set _Z20subtract_left_kernelIdii10custom_op2Lj33ELj5EEvPKT_PT1_.has_dyn_sized_stack, 0
	.set _Z20subtract_left_kernelIdii10custom_op2Lj33ELj5EEvPKT_PT1_.has_recursion, 0
	.set _Z20subtract_left_kernelIdii10custom_op2Lj33ELj5EEvPKT_PT1_.has_indirect_call, 0
	.section	.AMDGPU.csdata,"",@progbits
; Kernel info:
; codeLenInByte = 452
; TotalNumSgprs: 11
; NumVgprs: 28
; ScratchSize: 0
; MemoryBound: 0
; FloatMode: 240
; IeeeMode: 1
; LDSByteSize: 528 bytes/workgroup (compile time only)
; SGPRBlocks: 0
; VGPRBlocks: 1
; NumSGPRsForWavesPerEU: 11
; NumVGPRsForWavesPerEU: 28
; NamedBarCnt: 0
; Occupancy: 16
; WaveLimiterHint : 0
; COMPUTE_PGM_RSRC2:SCRATCH_EN: 0
; COMPUTE_PGM_RSRC2:USER_SGPR: 2
; COMPUTE_PGM_RSRC2:TRAP_HANDLER: 0
; COMPUTE_PGM_RSRC2:TGID_X_EN: 1
; COMPUTE_PGM_RSRC2:TGID_Y_EN: 0
; COMPUTE_PGM_RSRC2:TGID_Z_EN: 0
; COMPUTE_PGM_RSRC2:TIDIG_COMP_CNT: 0
	.section	.text._Z20subtract_left_kernelIsss10custom_op1Lj512ELj8EEvPKT_PT1_,"axG",@progbits,_Z20subtract_left_kernelIsss10custom_op1Lj512ELj8EEvPKT_PT1_,comdat
	.protected	_Z20subtract_left_kernelIsss10custom_op1Lj512ELj8EEvPKT_PT1_ ; -- Begin function _Z20subtract_left_kernelIsss10custom_op1Lj512ELj8EEvPKT_PT1_
	.globl	_Z20subtract_left_kernelIsss10custom_op1Lj512ELj8EEvPKT_PT1_
	.p2align	8
	.type	_Z20subtract_left_kernelIsss10custom_op1Lj512ELj8EEvPKT_PT1_,@function
_Z20subtract_left_kernelIsss10custom_op1Lj512ELj8EEvPKT_PT1_: ; @_Z20subtract_left_kernelIsss10custom_op1Lj512ELj8EEvPKT_PT1_
; %bb.0:
	s_load_b128 s[0:3], s[0:1], 0x0
	s_bfe_u32 s4, ttmp6, 0x4000c
	s_and_b32 s5, ttmp6, 15
	s_add_co_i32 s4, s4, 1
	s_getreg_b32 s6, hwreg(HW_REG_IB_STS2, 6, 4)
	s_mul_i32 s4, ttmp9, s4
	s_mov_b32 s7, 0
	s_add_co_i32 s5, s5, s4
	s_cmp_eq_u32 s6, 0
	v_dual_lshlrev_b32 v1, 4, v0 :: v_dual_lshlrev_b32 v9, 1, v0
	s_cselect_b32 s10, ttmp9, s5
	v_cmp_ne_u32_e32 vcc_lo, 0, v0
	s_lshl_b32 s6, s10, 12
	s_delay_alu instid0(SALU_CYCLE_1)
	s_lshl_b64 s[4:5], s[6:7], 1
	s_bitcmp0_b32 s10, 0
	s_wait_kmcnt 0x0
	s_add_nc_u64 s[8:9], s[0:1], s[4:5]
	s_clause 0x3
	global_load_b32 v8, v1, s[8:9]
	global_load_b32 v11, v1, s[8:9] offset:10
	global_load_u16 v10, v1, s[8:9] offset:14
	global_load_b64 v[6:7], v1, s[8:9] offset:2
	s_wait_xcnt 0x0
	v_lshlrev_b32_e32 v1, 3, v0
	s_cbranch_scc1 .LBB76_5
; %bb.1:
	s_add_co_i32 s6, s6, -1
	s_wait_loadcnt 0x1
	ds_store_b16 v9, v10
	v_mov_b32_e32 v2, s6
	global_load_u16 v2, v2, s[0:1] scale_offset
	s_wait_loadcnt_dscnt 0x0
	s_barrier_signal -1
	s_barrier_wait -1
	s_and_saveexec_b32 s0, vcc_lo
; %bb.2:
	v_add_nc_u32_e32 v2, -2, v9
	ds_load_u16 v2, v2
; %bb.3:
	s_or_b32 exec_lo, exec_lo, s0
	v_perm_b32 v3, v6, v8, 0x5040100
	v_alignbit_b32 v4, v7, v6, 16
	v_alignbit_b32 v5, v11, v7, 16
	v_lshrrev_b32_e32 v12, 16, v11
	s_wait_dscnt 0x0
	v_sub_nc_u16 v2, v8, v2
	v_pk_sub_i16 v3, v6, v3
	v_pk_sub_i16 v4, v7, v4
	;; [unrolled: 1-line block ×3, first 2 shown]
	v_sub_nc_u16 v12, v10, v12
	s_delay_alu instid0(VALU_DEP_4) | instskip(NEXT) | instid1(VALU_DEP_4)
	v_perm_b32 v2, v3, v2, 0x5040100
	v_alignbit_b32 v3, v4, v3, 16
	s_delay_alu instid0(VALU_DEP_4) | instskip(NEXT) | instid1(VALU_DEP_4)
	v_alignbit_b32 v4, v5, v4, 16
	v_alignbit_b32 v5, v12, v5, 16
.LBB76_4:
	s_delay_alu instid0(VALU_DEP_1)
	v_lshlrev_b32_e32 v0, 1, v1
	s_add_nc_u64 s[0:1], s[2:3], s[4:5]
	global_store_b128 v0, v[2:5], s[0:1]
	s_endpgm
.LBB76_5:
                                        ; implicit-def: $vgpr5
	s_cbranch_execz .LBB76_4
; %bb.6:
	s_wait_loadcnt 0x0
	v_alignbit_b32 v2, v7, v6, 16
	v_alignbit_b32 v3, v11, v7, 16
	v_lshrrev_b32_e32 v4, 16, v11
	v_pk_sub_i16 v5, v6, v8
	s_mov_b32 s0, exec_lo
	v_pk_sub_i16 v6, v7, v2
	v_pk_sub_i16 v7, v11, v3
	v_sub_nc_u16 v11, v10, v4
	v_perm_b32 v2, v5, v8, 0x5040100
	ds_store_b16 v9, v10
	v_alignbit_b32 v3, v6, v5, 16
	v_alignbit_b32 v4, v7, v6, 16
	;; [unrolled: 1-line block ×3, first 2 shown]
	s_wait_dscnt 0x0
	s_barrier_signal -1
	s_barrier_wait -1
	v_cmpx_ne_u32_e32 0, v0
	s_cbranch_execz .LBB76_8
; %bb.7:
	v_add_nc_u32_e32 v0, -2, v9
	ds_load_u16 v0, v0
	s_wait_dscnt 0x0
	v_sub_nc_u16 v0, v8, v0
	s_delay_alu instid0(VALU_DEP_1)
	v_bfi_b32 v2, 0xffff, v0, v2
.LBB76_8:
	s_or_b32 exec_lo, exec_lo, s0
	v_lshlrev_b32_e32 v0, 1, v1
	s_add_nc_u64 s[0:1], s[2:3], s[4:5]
	global_store_b128 v0, v[2:5], s[0:1]
	s_endpgm
	.section	.rodata,"a",@progbits
	.p2align	6, 0x0
	.amdhsa_kernel _Z20subtract_left_kernelIsss10custom_op1Lj512ELj8EEvPKT_PT1_
		.amdhsa_group_segment_fixed_size 2048
		.amdhsa_private_segment_fixed_size 0
		.amdhsa_kernarg_size 16
		.amdhsa_user_sgpr_count 2
		.amdhsa_user_sgpr_dispatch_ptr 0
		.amdhsa_user_sgpr_queue_ptr 0
		.amdhsa_user_sgpr_kernarg_segment_ptr 1
		.amdhsa_user_sgpr_dispatch_id 0
		.amdhsa_user_sgpr_kernarg_preload_length 0
		.amdhsa_user_sgpr_kernarg_preload_offset 0
		.amdhsa_user_sgpr_private_segment_size 0
		.amdhsa_wavefront_size32 1
		.amdhsa_uses_dynamic_stack 0
		.amdhsa_enable_private_segment 0
		.amdhsa_system_sgpr_workgroup_id_x 1
		.amdhsa_system_sgpr_workgroup_id_y 0
		.amdhsa_system_sgpr_workgroup_id_z 0
		.amdhsa_system_sgpr_workgroup_info 0
		.amdhsa_system_vgpr_workitem_id 0
		.amdhsa_next_free_vgpr 13
		.amdhsa_next_free_sgpr 11
		.amdhsa_named_barrier_count 0
		.amdhsa_reserve_vcc 1
		.amdhsa_float_round_mode_32 0
		.amdhsa_float_round_mode_16_64 0
		.amdhsa_float_denorm_mode_32 3
		.amdhsa_float_denorm_mode_16_64 3
		.amdhsa_fp16_overflow 0
		.amdhsa_memory_ordered 1
		.amdhsa_forward_progress 1
		.amdhsa_inst_pref_size 5
		.amdhsa_round_robin_scheduling 0
		.amdhsa_exception_fp_ieee_invalid_op 0
		.amdhsa_exception_fp_denorm_src 0
		.amdhsa_exception_fp_ieee_div_zero 0
		.amdhsa_exception_fp_ieee_overflow 0
		.amdhsa_exception_fp_ieee_underflow 0
		.amdhsa_exception_fp_ieee_inexact 0
		.amdhsa_exception_int_div_zero 0
	.end_amdhsa_kernel
	.section	.text._Z20subtract_left_kernelIsss10custom_op1Lj512ELj8EEvPKT_PT1_,"axG",@progbits,_Z20subtract_left_kernelIsss10custom_op1Lj512ELj8EEvPKT_PT1_,comdat
.Lfunc_end76:
	.size	_Z20subtract_left_kernelIsss10custom_op1Lj512ELj8EEvPKT_PT1_, .Lfunc_end76-_Z20subtract_left_kernelIsss10custom_op1Lj512ELj8EEvPKT_PT1_
                                        ; -- End function
	.set _Z20subtract_left_kernelIsss10custom_op1Lj512ELj8EEvPKT_PT1_.num_vgpr, 13
	.set _Z20subtract_left_kernelIsss10custom_op1Lj512ELj8EEvPKT_PT1_.num_agpr, 0
	.set _Z20subtract_left_kernelIsss10custom_op1Lj512ELj8EEvPKT_PT1_.numbered_sgpr, 11
	.set _Z20subtract_left_kernelIsss10custom_op1Lj512ELj8EEvPKT_PT1_.num_named_barrier, 0
	.set _Z20subtract_left_kernelIsss10custom_op1Lj512ELj8EEvPKT_PT1_.private_seg_size, 0
	.set _Z20subtract_left_kernelIsss10custom_op1Lj512ELj8EEvPKT_PT1_.uses_vcc, 1
	.set _Z20subtract_left_kernelIsss10custom_op1Lj512ELj8EEvPKT_PT1_.uses_flat_scratch, 0
	.set _Z20subtract_left_kernelIsss10custom_op1Lj512ELj8EEvPKT_PT1_.has_dyn_sized_stack, 0
	.set _Z20subtract_left_kernelIsss10custom_op1Lj512ELj8EEvPKT_PT1_.has_recursion, 0
	.set _Z20subtract_left_kernelIsss10custom_op1Lj512ELj8EEvPKT_PT1_.has_indirect_call, 0
	.section	.AMDGPU.csdata,"",@progbits
; Kernel info:
; codeLenInByte = 560
; TotalNumSgprs: 13
; NumVgprs: 13
; ScratchSize: 0
; MemoryBound: 0
; FloatMode: 240
; IeeeMode: 1
; LDSByteSize: 2048 bytes/workgroup (compile time only)
; SGPRBlocks: 0
; VGPRBlocks: 0
; NumSGPRsForWavesPerEU: 13
; NumVGPRsForWavesPerEU: 13
; NamedBarCnt: 0
; Occupancy: 16
; WaveLimiterHint : 0
; COMPUTE_PGM_RSRC2:SCRATCH_EN: 0
; COMPUTE_PGM_RSRC2:USER_SGPR: 2
; COMPUTE_PGM_RSRC2:TRAP_HANDLER: 0
; COMPUTE_PGM_RSRC2:TGID_X_EN: 1
; COMPUTE_PGM_RSRC2:TGID_Y_EN: 0
; COMPUTE_PGM_RSRC2:TGID_Z_EN: 0
; COMPUTE_PGM_RSRC2:TIDIG_COMP_CNT: 0
	.section	.text._Z20subtract_left_kernelIthhN6hipcub3SumELj256ELj7EEvPKT_PT1_,"axG",@progbits,_Z20subtract_left_kernelIthhN6hipcub3SumELj256ELj7EEvPKT_PT1_,comdat
	.protected	_Z20subtract_left_kernelIthhN6hipcub3SumELj256ELj7EEvPKT_PT1_ ; -- Begin function _Z20subtract_left_kernelIthhN6hipcub3SumELj256ELj7EEvPKT_PT1_
	.globl	_Z20subtract_left_kernelIthhN6hipcub3SumELj256ELj7EEvPKT_PT1_
	.p2align	8
	.type	_Z20subtract_left_kernelIthhN6hipcub3SumELj256ELj7EEvPKT_PT1_,@function
_Z20subtract_left_kernelIthhN6hipcub3SumELj256ELj7EEvPKT_PT1_: ; @_Z20subtract_left_kernelIthhN6hipcub3SumELj256ELj7EEvPKT_PT1_
; %bb.0:
	s_load_b128 s[0:3], s[0:1], 0x0
	s_bfe_u32 s4, ttmp6, 0x4000c
	s_and_b32 s5, ttmp6, 15
	s_add_co_i32 s4, s4, 1
	s_getreg_b32 s6, hwreg(HW_REG_IB_STS2, 6, 4)
	s_mul_i32 s4, ttmp9, s4
	v_mul_u32_u24_e32 v6, 7, v0
	s_add_co_i32 s5, s5, s4
	s_cmp_eq_u32 s6, 0
	v_mov_b32_e32 v7, 0
	s_cselect_b32 s8, ttmp9, s5
	s_mov_b32 s5, 0
	s_mul_i32 s4, s8, 0x700
	v_lshlrev_b32_e32 v1, 1, v6
	s_lshl_b64 s[6:7], s[4:5], 1
	s_bitcmp0_b32 s8, 0
	v_cmp_ne_u32_e32 vcc_lo, 0, v0
	s_wait_kmcnt 0x0
	s_add_nc_u64 s[6:7], s[0:1], s[6:7]
	s_clause 0x1
	global_load_b32 v5, v1, s[6:7] offset:10
	global_load_b96 v[2:4], v1, s[6:7]
	s_wait_loadcnt 0x1
	s_wait_xcnt 0x0
	v_dual_lshlrev_b32 v1, 1, v0 :: v_dual_lshrrev_b32 v8, 16, v5
	s_cbranch_scc1 .LBB77_4
; %bb.1:
	s_add_co_i32 s6, s4, -1
	ds_store_b16 v1, v8
	v_mov_b32_e32 v9, s6
	global_load_u16 v9, v9, s[0:1] scale_offset
	s_wait_loadcnt_dscnt 0x0
	s_barrier_signal -1
	s_barrier_wait -1
	s_and_saveexec_b32 s0, vcc_lo
; %bb.2:
	v_add_nc_u32_e32 v9, -2, v1
	ds_load_u16 v9, v9
; %bb.3:
	s_or_b32 exec_lo, exec_lo, s0
	v_dual_lshrrev_b32 v10, 16, v2 :: v_dual_lshrrev_b32 v11, 16, v3
	s_wait_dscnt 0x0
	v_add_nc_u16 v9, v9, v2
	s_delay_alu instid0(VALU_DEP_2) | instskip(NEXT) | instid1(VALU_DEP_3)
	v_add_nc_u16 v12, v10, v2
	v_add_nc_u16 v13, v11, v3
	v_add_nc_u16 v10, v3, v10
	s_delay_alu instid0(VALU_DEP_3) | instskip(NEXT) | instid1(VALU_DEP_3)
	v_lshlrev_b16 v12, 8, v12
	v_lshlrev_b16 v13, 8, v13
	s_delay_alu instid0(VALU_DEP_2) | instskip(NEXT) | instid1(VALU_DEP_2)
	v_perm_b32 v9, v9, v12, 0xc0c0104
	v_perm_b32 v10, v10, v13, 0xc0c0104
	v_add_nc_u16 v13, v4, v11
	v_add_nc_u16 v11, v5, v8
	;; [unrolled: 1-line block ×3, first 2 shown]
	s_delay_alu instid0(VALU_DEP_4) | instskip(NEXT) | instid1(VALU_DEP_4)
	v_lshl_or_b32 v9, v10, 16, v9
	v_and_b32_e32 v10, 0xff, v13
	s_branch .LBB77_8
.LBB77_4:
                                        ; implicit-def: $vgpr11
                                        ; implicit-def: $vgpr12
                                        ; implicit-def: $vgpr10
                                        ; implicit-def: $vgpr9
	s_cbranch_execz .LBB77_8
; %bb.5:
	s_wait_loadcnt 0x0
	v_dual_lshrrev_b32 v9, 16, v2 :: v_dual_lshrrev_b32 v11, 16, v3
	s_mov_b32 s0, exec_lo
	ds_store_b16 v1, v8
	s_wait_dscnt 0x0
	v_add_nc_u16 v10, v2, v9
	v_add_nc_u16 v13, v3, v11
	;; [unrolled: 1-line block ×4, first 2 shown]
	s_barrier_signal -1
	v_lshlrev_b16 v10, 8, v10
	v_lshlrev_b16 v13, 8, v13
	s_barrier_wait -1
	s_delay_alu instid0(VALU_DEP_2) | instskip(NEXT) | instid1(VALU_DEP_2)
	v_dual_lshrrev_b32 v12, 16, v4 :: v_dual_lshrrev_b32 v10, 8, v10
	v_perm_b32 v9, v9, v13, 0xc0c0104
	s_delay_alu instid0(VALU_DEP_2) | instskip(NEXT) | instid1(VALU_DEP_3)
	v_add_nc_u16 v12, v8, v12
	v_lshlrev_b16 v10, 8, v10
	s_delay_alu instid0(VALU_DEP_2) | instskip(NEXT) | instid1(VALU_DEP_2)
	v_lshlrev_b16 v5, 8, v12
	v_bitop3_b16 v10, v2, v10, 0xff bitop3:0xec
	s_delay_alu instid0(VALU_DEP_1) | instskip(SKIP_3) | instid1(VALU_DEP_4)
	v_and_b32_e32 v13, 0xffff, v10
	v_add_nc_u16 v10, v11, v4
	v_and_b32_e32 v11, 0xff, v12
	v_bitop3_b16 v12, v3, v5, 0xff bitop3:0xec
	v_lshl_or_b32 v9, v9, 16, v13
	v_cmpx_ne_u32_e32 0, v0
	s_cbranch_execz .LBB77_7
; %bb.6:
	v_add_nc_u32_e32 v0, -2, v1
	v_lshlrev_b16 v1, 8, v3
	v_lshlrev_b32_e32 v3, 16, v11
	ds_load_u8 v0, v0
	v_perm_b32 v1, v10, v1, 0xc0c0104
	s_delay_alu instid0(VALU_DEP_1) | instskip(NEXT) | instid1(VALU_DEP_1)
	v_or_b32_e32 v1, v1, v3
	v_dual_lshrrev_b32 v12, 8, v1 :: v_dual_lshrrev_b32 v11, 16, v1
	s_wait_dscnt 0x0
	v_add_nc_u16 v0, v0, v2
	s_delay_alu instid0(VALU_DEP_1)
	v_perm_b32 v9, v0, v9, 0x3020104
.LBB77_7:
	s_or_b32 exec_lo, exec_lo, s0
.LBB77_8:
	s_add_nc_u64 s[0:1], s[2:3], s[4:5]
	s_wait_loadcnt 0x0
	s_delay_alu instid0(VALU_DEP_1)
	v_perm_b32 v2, v10, v12, 0xc0c0004
	v_add_nc_u64_e32 v[0:1], s[0:1], v[6:7]
	s_clause 0x2
	global_store_b8 v[0:1], v11, off offset:6
	global_store_b16 v[0:1], v2, off offset:4
	global_store_b32 v[0:1], v9, off
	s_endpgm
	.section	.rodata,"a",@progbits
	.p2align	6, 0x0
	.amdhsa_kernel _Z20subtract_left_kernelIthhN6hipcub3SumELj256ELj7EEvPKT_PT1_
		.amdhsa_group_segment_fixed_size 1024
		.amdhsa_private_segment_fixed_size 0
		.amdhsa_kernarg_size 16
		.amdhsa_user_sgpr_count 2
		.amdhsa_user_sgpr_dispatch_ptr 0
		.amdhsa_user_sgpr_queue_ptr 0
		.amdhsa_user_sgpr_kernarg_segment_ptr 1
		.amdhsa_user_sgpr_dispatch_id 0
		.amdhsa_user_sgpr_kernarg_preload_length 0
		.amdhsa_user_sgpr_kernarg_preload_offset 0
		.amdhsa_user_sgpr_private_segment_size 0
		.amdhsa_wavefront_size32 1
		.amdhsa_uses_dynamic_stack 0
		.amdhsa_enable_private_segment 0
		.amdhsa_system_sgpr_workgroup_id_x 1
		.amdhsa_system_sgpr_workgroup_id_y 0
		.amdhsa_system_sgpr_workgroup_id_z 0
		.amdhsa_system_sgpr_workgroup_info 0
		.amdhsa_system_vgpr_workitem_id 0
		.amdhsa_next_free_vgpr 14
		.amdhsa_next_free_sgpr 9
		.amdhsa_named_barrier_count 0
		.amdhsa_reserve_vcc 1
		.amdhsa_float_round_mode_32 0
		.amdhsa_float_round_mode_16_64 0
		.amdhsa_float_denorm_mode_32 3
		.amdhsa_float_denorm_mode_16_64 3
		.amdhsa_fp16_overflow 0
		.amdhsa_memory_ordered 1
		.amdhsa_forward_progress 1
		.amdhsa_inst_pref_size 6
		.amdhsa_round_robin_scheduling 0
		.amdhsa_exception_fp_ieee_invalid_op 0
		.amdhsa_exception_fp_denorm_src 0
		.amdhsa_exception_fp_ieee_div_zero 0
		.amdhsa_exception_fp_ieee_overflow 0
		.amdhsa_exception_fp_ieee_underflow 0
		.amdhsa_exception_fp_ieee_inexact 0
		.amdhsa_exception_int_div_zero 0
	.end_amdhsa_kernel
	.section	.text._Z20subtract_left_kernelIthhN6hipcub3SumELj256ELj7EEvPKT_PT1_,"axG",@progbits,_Z20subtract_left_kernelIthhN6hipcub3SumELj256ELj7EEvPKT_PT1_,comdat
.Lfunc_end77:
	.size	_Z20subtract_left_kernelIthhN6hipcub3SumELj256ELj7EEvPKT_PT1_, .Lfunc_end77-_Z20subtract_left_kernelIthhN6hipcub3SumELj256ELj7EEvPKT_PT1_
                                        ; -- End function
	.set _Z20subtract_left_kernelIthhN6hipcub3SumELj256ELj7EEvPKT_PT1_.num_vgpr, 14
	.set _Z20subtract_left_kernelIthhN6hipcub3SumELj256ELj7EEvPKT_PT1_.num_agpr, 0
	.set _Z20subtract_left_kernelIthhN6hipcub3SumELj256ELj7EEvPKT_PT1_.numbered_sgpr, 9
	.set _Z20subtract_left_kernelIthhN6hipcub3SumELj256ELj7EEvPKT_PT1_.num_named_barrier, 0
	.set _Z20subtract_left_kernelIthhN6hipcub3SumELj256ELj7EEvPKT_PT1_.private_seg_size, 0
	.set _Z20subtract_left_kernelIthhN6hipcub3SumELj256ELj7EEvPKT_PT1_.uses_vcc, 1
	.set _Z20subtract_left_kernelIthhN6hipcub3SumELj256ELj7EEvPKT_PT1_.uses_flat_scratch, 0
	.set _Z20subtract_left_kernelIthhN6hipcub3SumELj256ELj7EEvPKT_PT1_.has_dyn_sized_stack, 0
	.set _Z20subtract_left_kernelIthhN6hipcub3SumELj256ELj7EEvPKT_PT1_.has_recursion, 0
	.set _Z20subtract_left_kernelIthhN6hipcub3SumELj256ELj7EEvPKT_PT1_.has_indirect_call, 0
	.section	.AMDGPU.csdata,"",@progbits
; Kernel info:
; codeLenInByte = 728
; TotalNumSgprs: 11
; NumVgprs: 14
; ScratchSize: 0
; MemoryBound: 0
; FloatMode: 240
; IeeeMode: 1
; LDSByteSize: 1024 bytes/workgroup (compile time only)
; SGPRBlocks: 0
; VGPRBlocks: 0
; NumSGPRsForWavesPerEU: 11
; NumVGPRsForWavesPerEU: 14
; NamedBarCnt: 0
; Occupancy: 16
; WaveLimiterHint : 0
; COMPUTE_PGM_RSRC2:SCRATCH_EN: 0
; COMPUTE_PGM_RSRC2:USER_SGPR: 2
; COMPUTE_PGM_RSRC2:TRAP_HANDLER: 0
; COMPUTE_PGM_RSRC2:TGID_X_EN: 1
; COMPUTE_PGM_RSRC2:TGID_Y_EN: 0
; COMPUTE_PGM_RSRC2:TGID_Z_EN: 0
; COMPUTE_PGM_RSRC2:TIDIG_COMP_CNT: 0
	.section	.text._Z20subtract_left_kernelIiss10custom_op2Lj128ELj4EEvPKT_PT1_,"axG",@progbits,_Z20subtract_left_kernelIiss10custom_op2Lj128ELj4EEvPKT_PT1_,comdat
	.protected	_Z20subtract_left_kernelIiss10custom_op2Lj128ELj4EEvPKT_PT1_ ; -- Begin function _Z20subtract_left_kernelIiss10custom_op2Lj128ELj4EEvPKT_PT1_
	.globl	_Z20subtract_left_kernelIiss10custom_op2Lj128ELj4EEvPKT_PT1_
	.p2align	8
	.type	_Z20subtract_left_kernelIiss10custom_op2Lj128ELj4EEvPKT_PT1_,@function
_Z20subtract_left_kernelIiss10custom_op2Lj128ELj4EEvPKT_PT1_: ; @_Z20subtract_left_kernelIiss10custom_op2Lj128ELj4EEvPKT_PT1_
; %bb.0:
	s_load_b128 s[0:3], s[0:1], 0x0
	s_bfe_u32 s4, ttmp6, 0x4000c
	s_and_b32 s5, ttmp6, 15
	s_add_co_i32 s4, s4, 1
	s_getreg_b32 s6, hwreg(HW_REG_IB_STS2, 6, 4)
	s_mul_i32 s4, ttmp9, s4
	v_lshlrev_b32_e32 v1, 4, v0
	s_add_co_i32 s5, s5, s4
	s_cmp_eq_u32 s6, 0
	v_cmp_ne_u32_e32 vcc_lo, 0, v0
	s_cselect_b32 s8, ttmp9, s5
	s_mov_b32 s5, 0
	s_lshl_b32 s4, s8, 9
	s_delay_alu instid0(SALU_CYCLE_1)
	s_lshl_b64 s[6:7], s[4:5], 2
	s_bitcmp0_b32 s8, 0
	s_wait_kmcnt 0x0
	s_add_nc_u64 s[6:7], s[0:1], s[6:7]
	s_clause 0x1
	global_load_b96 v[2:4], v1, s[6:7]
	global_load_b64 v[6:7], v1, s[6:7] offset:8
	s_wait_xcnt 0x0
	v_lshlrev_b32_e32 v1, 2, v0
	s_cbranch_scc1 .LBB78_4
; %bb.1:
	s_add_co_i32 s6, s4, -1
	s_wait_loadcnt 0x0
	ds_store_b32 v1, v7
	s_load_b32 s0, s[0:1], s6 offset:0x0 scale_offset
	s_wait_dscnt 0x0
	s_barrier_signal -1
	s_barrier_wait -1
	s_wait_kmcnt 0x0
	v_mov_b32_e32 v5, s0
	s_and_saveexec_b32 s0, vcc_lo
; %bb.2:
	v_add_nc_u32_e32 v5, -4, v1
	ds_load_b32 v5, v5
; %bb.3:
	s_or_b32 exec_lo, exec_lo, s0
	v_dual_lshlrev_b32 v8, 1, v4 :: v_dual_lshlrev_b32 v9, 1, v2
	s_wait_dscnt 0x0
	v_dual_lshlrev_b32 v5, 1, v5 :: v_dual_lshlrev_b32 v10, 1, v3
	s_delay_alu instid0(VALU_DEP_2) | instskip(NEXT) | instid1(VALU_DEP_3)
	v_sub_nc_u32_e32 v11, v8, v7
	v_sub_nc_u32_e32 v8, v9, v3
	s_delay_alu instid0(VALU_DEP_3) | instskip(NEXT) | instid1(VALU_DEP_1)
	v_dual_sub_nc_u32 v5, v5, v2 :: v_dual_sub_nc_u32 v9, v10, v4
	v_perm_b32 v8, v8, v5, 0x5040100
	s_delay_alu instid0(VALU_DEP_2)
	v_perm_b32 v9, v11, v9, 0x5040100
	s_branch .LBB78_8
.LBB78_4:
                                        ; implicit-def: $vgpr9
	s_cbranch_execz .LBB78_8
; %bb.5:
	s_wait_loadcnt 0x1
	v_dual_lshlrev_b32 v4, 1, v4 :: v_dual_lshlrev_b32 v5, 1, v2
	v_lshlrev_b32_e32 v8, 1, v3
	s_mov_b32 s0, exec_lo
	s_wait_loadcnt 0x0
	ds_store_b32 v1, v7
	v_sub_nc_u32_e32 v4, v4, v7
	v_dual_sub_nc_u32 v3, v5, v3 :: v_dual_sub_nc_u32 v5, v8, v6
	s_wait_dscnt 0x0
	s_barrier_signal -1
	s_barrier_wait -1
	s_delay_alu instid0(VALU_DEP_1)
	v_perm_b32 v8, v3, v2, 0x5040100
	v_perm_b32 v9, v4, v5, 0x5040100
	v_cmpx_ne_u32_e32 0, v0
	s_cbranch_execz .LBB78_7
; %bb.6:
	v_add_nc_u32_e32 v0, -4, v1
	ds_load_b32 v0, v0
	s_wait_dscnt 0x0
	v_lshlrev_b32_e32 v0, 1, v0
	s_delay_alu instid0(VALU_DEP_1) | instskip(NEXT) | instid1(VALU_DEP_1)
	v_sub_nc_u32_e32 v0, v0, v2
	v_bfi_b32 v8, 0xffff, v0, v8
.LBB78_7:
	s_or_b32 exec_lo, exec_lo, s0
.LBB78_8:
	s_delay_alu instid0(VALU_DEP_1) | instskip(SKIP_1) | instid1(SALU_CYCLE_1)
	v_lshlrev_b32_e32 v0, 1, v1
	s_lshl_b64 s[0:1], s[4:5], 1
	s_add_nc_u64 s[0:1], s[2:3], s[0:1]
	global_store_b64 v0, v[8:9], s[0:1]
	s_endpgm
	.section	.rodata,"a",@progbits
	.p2align	6, 0x0
	.amdhsa_kernel _Z20subtract_left_kernelIiss10custom_op2Lj128ELj4EEvPKT_PT1_
		.amdhsa_group_segment_fixed_size 1024
		.amdhsa_private_segment_fixed_size 0
		.amdhsa_kernarg_size 16
		.amdhsa_user_sgpr_count 2
		.amdhsa_user_sgpr_dispatch_ptr 0
		.amdhsa_user_sgpr_queue_ptr 0
		.amdhsa_user_sgpr_kernarg_segment_ptr 1
		.amdhsa_user_sgpr_dispatch_id 0
		.amdhsa_user_sgpr_kernarg_preload_length 0
		.amdhsa_user_sgpr_kernarg_preload_offset 0
		.amdhsa_user_sgpr_private_segment_size 0
		.amdhsa_wavefront_size32 1
		.amdhsa_uses_dynamic_stack 0
		.amdhsa_enable_private_segment 0
		.amdhsa_system_sgpr_workgroup_id_x 1
		.amdhsa_system_sgpr_workgroup_id_y 0
		.amdhsa_system_sgpr_workgroup_id_z 0
		.amdhsa_system_sgpr_workgroup_info 0
		.amdhsa_system_vgpr_workitem_id 0
		.amdhsa_next_free_vgpr 12
		.amdhsa_next_free_sgpr 9
		.amdhsa_named_barrier_count 0
		.amdhsa_reserve_vcc 1
		.amdhsa_float_round_mode_32 0
		.amdhsa_float_round_mode_16_64 0
		.amdhsa_float_denorm_mode_32 3
		.amdhsa_float_denorm_mode_16_64 3
		.amdhsa_fp16_overflow 0
		.amdhsa_memory_ordered 1
		.amdhsa_forward_progress 1
		.amdhsa_inst_pref_size 4
		.amdhsa_round_robin_scheduling 0
		.amdhsa_exception_fp_ieee_invalid_op 0
		.amdhsa_exception_fp_denorm_src 0
		.amdhsa_exception_fp_ieee_div_zero 0
		.amdhsa_exception_fp_ieee_overflow 0
		.amdhsa_exception_fp_ieee_underflow 0
		.amdhsa_exception_fp_ieee_inexact 0
		.amdhsa_exception_int_div_zero 0
	.end_amdhsa_kernel
	.section	.text._Z20subtract_left_kernelIiss10custom_op2Lj128ELj4EEvPKT_PT1_,"axG",@progbits,_Z20subtract_left_kernelIiss10custom_op2Lj128ELj4EEvPKT_PT1_,comdat
.Lfunc_end78:
	.size	_Z20subtract_left_kernelIiss10custom_op2Lj128ELj4EEvPKT_PT1_, .Lfunc_end78-_Z20subtract_left_kernelIiss10custom_op2Lj128ELj4EEvPKT_PT1_
                                        ; -- End function
	.set _Z20subtract_left_kernelIiss10custom_op2Lj128ELj4EEvPKT_PT1_.num_vgpr, 12
	.set _Z20subtract_left_kernelIiss10custom_op2Lj128ELj4EEvPKT_PT1_.num_agpr, 0
	.set _Z20subtract_left_kernelIiss10custom_op2Lj128ELj4EEvPKT_PT1_.numbered_sgpr, 9
	.set _Z20subtract_left_kernelIiss10custom_op2Lj128ELj4EEvPKT_PT1_.num_named_barrier, 0
	.set _Z20subtract_left_kernelIiss10custom_op2Lj128ELj4EEvPKT_PT1_.private_seg_size, 0
	.set _Z20subtract_left_kernelIiss10custom_op2Lj128ELj4EEvPKT_PT1_.uses_vcc, 1
	.set _Z20subtract_left_kernelIiss10custom_op2Lj128ELj4EEvPKT_PT1_.uses_flat_scratch, 0
	.set _Z20subtract_left_kernelIiss10custom_op2Lj128ELj4EEvPKT_PT1_.has_dyn_sized_stack, 0
	.set _Z20subtract_left_kernelIiss10custom_op2Lj128ELj4EEvPKT_PT1_.has_recursion, 0
	.set _Z20subtract_left_kernelIiss10custom_op2Lj128ELj4EEvPKT_PT1_.has_indirect_call, 0
	.section	.AMDGPU.csdata,"",@progbits
; Kernel info:
; codeLenInByte = 452
; TotalNumSgprs: 11
; NumVgprs: 12
; ScratchSize: 0
; MemoryBound: 0
; FloatMode: 240
; IeeeMode: 1
; LDSByteSize: 1024 bytes/workgroup (compile time only)
; SGPRBlocks: 0
; VGPRBlocks: 0
; NumSGPRsForWavesPerEU: 11
; NumVGPRsForWavesPerEU: 12
; NamedBarCnt: 0
; Occupancy: 16
; WaveLimiterHint : 0
; COMPUTE_PGM_RSRC2:SCRATCH_EN: 0
; COMPUTE_PGM_RSRC2:USER_SGPR: 2
; COMPUTE_PGM_RSRC2:TRAP_HANDLER: 0
; COMPUTE_PGM_RSRC2:TGID_X_EN: 1
; COMPUTE_PGM_RSRC2:TGID_Y_EN: 0
; COMPUTE_PGM_RSRC2:TGID_Z_EN: 0
; COMPUTE_PGM_RSRC2:TIDIG_COMP_CNT: 0
	.section	.text._Z20subtract_left_kernelIicc10custom_op1Lj64ELj2EEvPKT_PT1_,"axG",@progbits,_Z20subtract_left_kernelIicc10custom_op1Lj64ELj2EEvPKT_PT1_,comdat
	.protected	_Z20subtract_left_kernelIicc10custom_op1Lj64ELj2EEvPKT_PT1_ ; -- Begin function _Z20subtract_left_kernelIicc10custom_op1Lj64ELj2EEvPKT_PT1_
	.globl	_Z20subtract_left_kernelIicc10custom_op1Lj64ELj2EEvPKT_PT1_
	.p2align	8
	.type	_Z20subtract_left_kernelIicc10custom_op1Lj64ELj2EEvPKT_PT1_,@function
_Z20subtract_left_kernelIicc10custom_op1Lj64ELj2EEvPKT_PT1_: ; @_Z20subtract_left_kernelIicc10custom_op1Lj64ELj2EEvPKT_PT1_
; %bb.0:
	s_load_b128 s[0:3], s[0:1], 0x0
	s_bfe_u32 s4, ttmp6, 0x4000c
	s_and_b32 s5, ttmp6, 15
	s_add_co_i32 s4, s4, 1
	s_getreg_b32 s6, hwreg(HW_REG_IB_STS2, 6, 4)
	s_mul_i32 s4, ttmp9, s4
	v_dual_mov_b32 v3, 0 :: v_dual_lshlrev_b32 v2, 1, v0
	s_add_co_i32 s5, s5, s4
	s_cmp_eq_u32 s6, 0
	v_lshlrev_b32_e32 v1, 2, v0
	s_cselect_b32 s8, ttmp9, s5
	s_mov_b32 s5, 0
	s_lshl_b32 s4, s8, 7
	v_cmp_ne_u32_e32 vcc_lo, 0, v0
	s_lshl_b64 s[6:7], s[4:5], 2
	s_bitcmp0_b32 s8, 0
	s_wait_kmcnt 0x0
	s_add_nc_u64 s[6:7], s[0:1], s[6:7]
	global_load_b64 v[4:5], v0, s[6:7] scale_offset
	s_cbranch_scc1 .LBB79_5
; %bb.1:
	s_wait_xcnt 0x0
	s_add_co_i32 s6, s4, -1
	s_wait_loadcnt 0x0
	ds_store_b32 v1, v5
	s_load_b32 s0, s[0:1], s6 offset:0x0 scale_offset
	s_wait_dscnt 0x0
	s_barrier_signal -1
	s_barrier_wait -1
	s_wait_kmcnt 0x0
	v_mov_b32_e32 v6, s0
	s_and_saveexec_b32 s0, vcc_lo
; %bb.2:
	v_add_nc_u32_e32 v6, -4, v1
	ds_load_b32 v6, v6
; %bb.3:
	s_or_b32 exec_lo, exec_lo, s0
	s_wait_dscnt 0x0
	v_dual_sub_nc_u32 v7, v5, v4 :: v_dual_sub_nc_u32 v6, v4, v6
	s_delay_alu instid0(VALU_DEP_1) | instskip(NEXT) | instid1(VALU_DEP_1)
	v_lshlrev_b16 v7, 8, v7
	v_bitop3_b16 v6, v6, v7, 0xff bitop3:0xec
	s_delay_alu instid0(VALU_DEP_1)
	v_and_b32_e32 v6, 0xffff, v6
.LBB79_4:
	s_add_nc_u64 s[0:1], s[2:3], s[4:5]
	s_wait_xcnt 0x0
	v_add_nc_u64_e32 v[0:1], s[0:1], v[2:3]
	global_store_b16 v[0:1], v6, off
	s_endpgm
.LBB79_5:
                                        ; implicit-def: $vgpr6
	s_cbranch_execz .LBB79_4
; %bb.6:
	s_wait_loadcnt 0x0
	v_sub_nc_u32_e32 v6, v5, v4
	s_mov_b32 s0, exec_lo
	ds_store_b32 v1, v5
	s_wait_dscnt 0x0
	s_barrier_signal -1
	v_lshlrev_b16 v6, 8, v6
	s_barrier_wait -1
	s_delay_alu instid0(VALU_DEP_1) | instskip(NEXT) | instid1(VALU_DEP_1)
	v_bitop3_b16 v6, v4, v6, 0xff bitop3:0xec
	v_and_b32_e32 v6, 0xffff, v6
	v_cmpx_ne_u32_e32 0, v0
	s_cbranch_execz .LBB79_8
; %bb.7:
	v_add_nc_u32_e32 v0, -4, v1
	ds_load_b32 v0, v0
	s_wait_dscnt 0x0
	v_sub_nc_u32_e32 v0, v4, v0
	s_delay_alu instid0(VALU_DEP_1)
	v_perm_b32 v6, v0, v6, 0xc0c0104
.LBB79_8:
	s_or_b32 exec_lo, exec_lo, s0
	s_add_nc_u64 s[0:1], s[2:3], s[4:5]
	s_delay_alu instid0(SALU_CYCLE_1)
	v_add_nc_u64_e32 v[0:1], s[0:1], v[2:3]
	global_store_b16 v[0:1], v6, off
	s_endpgm
	.section	.rodata,"a",@progbits
	.p2align	6, 0x0
	.amdhsa_kernel _Z20subtract_left_kernelIicc10custom_op1Lj64ELj2EEvPKT_PT1_
		.amdhsa_group_segment_fixed_size 512
		.amdhsa_private_segment_fixed_size 0
		.amdhsa_kernarg_size 16
		.amdhsa_user_sgpr_count 2
		.amdhsa_user_sgpr_dispatch_ptr 0
		.amdhsa_user_sgpr_queue_ptr 0
		.amdhsa_user_sgpr_kernarg_segment_ptr 1
		.amdhsa_user_sgpr_dispatch_id 0
		.amdhsa_user_sgpr_kernarg_preload_length 0
		.amdhsa_user_sgpr_kernarg_preload_offset 0
		.amdhsa_user_sgpr_private_segment_size 0
		.amdhsa_wavefront_size32 1
		.amdhsa_uses_dynamic_stack 0
		.amdhsa_enable_private_segment 0
		.amdhsa_system_sgpr_workgroup_id_x 1
		.amdhsa_system_sgpr_workgroup_id_y 0
		.amdhsa_system_sgpr_workgroup_id_z 0
		.amdhsa_system_sgpr_workgroup_info 0
		.amdhsa_system_vgpr_workitem_id 0
		.amdhsa_next_free_vgpr 8
		.amdhsa_next_free_sgpr 9
		.amdhsa_named_barrier_count 0
		.amdhsa_reserve_vcc 1
		.amdhsa_float_round_mode_32 0
		.amdhsa_float_round_mode_16_64 0
		.amdhsa_float_denorm_mode_32 3
		.amdhsa_float_denorm_mode_16_64 3
		.amdhsa_fp16_overflow 0
		.amdhsa_memory_ordered 1
		.amdhsa_forward_progress 1
		.amdhsa_inst_pref_size 4
		.amdhsa_round_robin_scheduling 0
		.amdhsa_exception_fp_ieee_invalid_op 0
		.amdhsa_exception_fp_denorm_src 0
		.amdhsa_exception_fp_ieee_div_zero 0
		.amdhsa_exception_fp_ieee_overflow 0
		.amdhsa_exception_fp_ieee_underflow 0
		.amdhsa_exception_fp_ieee_inexact 0
		.amdhsa_exception_int_div_zero 0
	.end_amdhsa_kernel
	.section	.text._Z20subtract_left_kernelIicc10custom_op1Lj64ELj2EEvPKT_PT1_,"axG",@progbits,_Z20subtract_left_kernelIicc10custom_op1Lj64ELj2EEvPKT_PT1_,comdat
.Lfunc_end79:
	.size	_Z20subtract_left_kernelIicc10custom_op1Lj64ELj2EEvPKT_PT1_, .Lfunc_end79-_Z20subtract_left_kernelIicc10custom_op1Lj64ELj2EEvPKT_PT1_
                                        ; -- End function
	.set _Z20subtract_left_kernelIicc10custom_op1Lj64ELj2EEvPKT_PT1_.num_vgpr, 8
	.set _Z20subtract_left_kernelIicc10custom_op1Lj64ELj2EEvPKT_PT1_.num_agpr, 0
	.set _Z20subtract_left_kernelIicc10custom_op1Lj64ELj2EEvPKT_PT1_.numbered_sgpr, 9
	.set _Z20subtract_left_kernelIicc10custom_op1Lj64ELj2EEvPKT_PT1_.num_named_barrier, 0
	.set _Z20subtract_left_kernelIicc10custom_op1Lj64ELj2EEvPKT_PT1_.private_seg_size, 0
	.set _Z20subtract_left_kernelIicc10custom_op1Lj64ELj2EEvPKT_PT1_.uses_vcc, 1
	.set _Z20subtract_left_kernelIicc10custom_op1Lj64ELj2EEvPKT_PT1_.uses_flat_scratch, 0
	.set _Z20subtract_left_kernelIicc10custom_op1Lj64ELj2EEvPKT_PT1_.has_dyn_sized_stack, 0
	.set _Z20subtract_left_kernelIicc10custom_op1Lj64ELj2EEvPKT_PT1_.has_recursion, 0
	.set _Z20subtract_left_kernelIicc10custom_op1Lj64ELj2EEvPKT_PT1_.has_indirect_call, 0
	.section	.AMDGPU.csdata,"",@progbits
; Kernel info:
; codeLenInByte = 392
; TotalNumSgprs: 11
; NumVgprs: 8
; ScratchSize: 0
; MemoryBound: 0
; FloatMode: 240
; IeeeMode: 1
; LDSByteSize: 512 bytes/workgroup (compile time only)
; SGPRBlocks: 0
; VGPRBlocks: 0
; NumSGPRsForWavesPerEU: 11
; NumVGPRsForWavesPerEU: 8
; NamedBarCnt: 0
; Occupancy: 16
; WaveLimiterHint : 0
; COMPUTE_PGM_RSRC2:SCRATCH_EN: 0
; COMPUTE_PGM_RSRC2:USER_SGPR: 2
; COMPUTE_PGM_RSRC2:TRAP_HANDLER: 0
; COMPUTE_PGM_RSRC2:TGID_X_EN: 1
; COMPUTE_PGM_RSRC2:TGID_Y_EN: 0
; COMPUTE_PGM_RSRC2:TGID_Z_EN: 0
; COMPUTE_PGM_RSRC2:TIDIG_COMP_CNT: 0
	.section	.text._Z20subtract_left_kernelIhbiN6hipcub3SumELj255ELj1EEvPKT_PT1_,"axG",@progbits,_Z20subtract_left_kernelIhbiN6hipcub3SumELj255ELj1EEvPKT_PT1_,comdat
	.protected	_Z20subtract_left_kernelIhbiN6hipcub3SumELj255ELj1EEvPKT_PT1_ ; -- Begin function _Z20subtract_left_kernelIhbiN6hipcub3SumELj255ELj1EEvPKT_PT1_
	.globl	_Z20subtract_left_kernelIhbiN6hipcub3SumELj255ELj1EEvPKT_PT1_
	.p2align	8
	.type	_Z20subtract_left_kernelIhbiN6hipcub3SumELj255ELj1EEvPKT_PT1_,@function
_Z20subtract_left_kernelIhbiN6hipcub3SumELj255ELj1EEvPKT_PT1_: ; @_Z20subtract_left_kernelIhbiN6hipcub3SumELj255ELj1EEvPKT_PT1_
; %bb.0:
	s_load_b128 s[0:3], s[0:1], 0x0
	s_bfe_u32 s4, ttmp6, 0x4000c
	s_and_b32 s5, ttmp6, 15
	s_add_co_i32 s4, s4, 1
	s_getreg_b32 s6, hwreg(HW_REG_IB_STS2, 6, 4)
	s_mul_i32 s4, ttmp9, s4
	v_cmp_ne_u32_e32 vcc_lo, 0, v0
	s_add_co_i32 s5, s5, s4
	s_cmp_eq_u32 s6, 0
	s_cselect_b32 s8, ttmp9, s5
	s_mov_b32 s5, 0
	s_mul_i32 s4, s8, 0xff
	s_bitcmp0_b32 s8, 0
	s_wait_kmcnt 0x0
	s_add_nc_u64 s[6:7], s[0:1], s[4:5]
	global_load_u8 v1, v0, s[6:7]
	s_cbranch_scc1 .LBB80_4
; %bb.1:
	s_wait_xcnt 0x0
	s_add_co_i32 s6, s4, -1
	s_wait_loadcnt 0x0
	ds_store_b8 v0, v1
	v_mov_b32_e32 v2, s6
	global_load_u8 v2, v2, s[0:1]
	s_wait_loadcnt_dscnt 0x0
	s_barrier_signal -1
	s_barrier_wait -1
	s_and_saveexec_b32 s0, vcc_lo
; %bb.2:
	v_add_nc_u32_e32 v2, -1, v0
	ds_load_u8 v2, v2
; %bb.3:
	s_or_b32 exec_lo, exec_lo, s0
	s_wait_dscnt 0x0
	v_or_b32_e32 v2, v2, v1
	s_branch .LBB80_8
.LBB80_4:
                                        ; implicit-def: $vgpr2
	s_cbranch_execz .LBB80_8
; %bb.5:
	s_mov_b32 s0, exec_lo
	s_wait_loadcnt 0x0
	ds_store_b8 v0, v1
	s_wait_dscnt 0x0
	s_barrier_signal -1
	s_barrier_wait -1
	v_cmpx_ne_u32_e32 0, v0
	s_cbranch_execz .LBB80_7
; %bb.6:
	v_add_nc_u32_e32 v2, -1, v0
	ds_load_u8 v2, v2
	s_wait_dscnt 0x0
	v_or_b32_e32 v1, v2, v1
.LBB80_7:
	s_or_b32 exec_lo, exec_lo, s0
	s_delay_alu instid0(VALU_DEP_1)
	v_mov_b32_e32 v2, v1
.LBB80_8:
	s_wait_loadcnt 0x0
	s_delay_alu instid0(VALU_DEP_1) | instskip(SKIP_1) | instid1(SALU_CYCLE_1)
	v_and_b32_e32 v1, 0xff, v2
	s_lshl_b64 s[0:1], s[4:5], 2
	s_add_nc_u64 s[0:1], s[2:3], s[0:1]
	s_delay_alu instid0(VALU_DEP_1)
	v_cmp_ne_u16_e32 vcc_lo, 0, v1
	v_cndmask_b32_e64 v1, 0, 1, vcc_lo
	global_store_b32 v0, v1, s[0:1] scale_offset
	s_endpgm
	.section	.rodata,"a",@progbits
	.p2align	6, 0x0
	.amdhsa_kernel _Z20subtract_left_kernelIhbiN6hipcub3SumELj255ELj1EEvPKT_PT1_
		.amdhsa_group_segment_fixed_size 510
		.amdhsa_private_segment_fixed_size 0
		.amdhsa_kernarg_size 16
		.amdhsa_user_sgpr_count 2
		.amdhsa_user_sgpr_dispatch_ptr 0
		.amdhsa_user_sgpr_queue_ptr 0
		.amdhsa_user_sgpr_kernarg_segment_ptr 1
		.amdhsa_user_sgpr_dispatch_id 0
		.amdhsa_user_sgpr_kernarg_preload_length 0
		.amdhsa_user_sgpr_kernarg_preload_offset 0
		.amdhsa_user_sgpr_private_segment_size 0
		.amdhsa_wavefront_size32 1
		.amdhsa_uses_dynamic_stack 0
		.amdhsa_enable_private_segment 0
		.amdhsa_system_sgpr_workgroup_id_x 1
		.amdhsa_system_sgpr_workgroup_id_y 0
		.amdhsa_system_sgpr_workgroup_id_z 0
		.amdhsa_system_sgpr_workgroup_info 0
		.amdhsa_system_vgpr_workitem_id 0
		.amdhsa_next_free_vgpr 3
		.amdhsa_next_free_sgpr 9
		.amdhsa_named_barrier_count 0
		.amdhsa_reserve_vcc 1
		.amdhsa_float_round_mode_32 0
		.amdhsa_float_round_mode_16_64 0
		.amdhsa_float_denorm_mode_32 3
		.amdhsa_float_denorm_mode_16_64 3
		.amdhsa_fp16_overflow 0
		.amdhsa_memory_ordered 1
		.amdhsa_forward_progress 1
		.amdhsa_inst_pref_size 3
		.amdhsa_round_robin_scheduling 0
		.amdhsa_exception_fp_ieee_invalid_op 0
		.amdhsa_exception_fp_denorm_src 0
		.amdhsa_exception_fp_ieee_div_zero 0
		.amdhsa_exception_fp_ieee_overflow 0
		.amdhsa_exception_fp_ieee_underflow 0
		.amdhsa_exception_fp_ieee_inexact 0
		.amdhsa_exception_int_div_zero 0
	.end_amdhsa_kernel
	.section	.text._Z20subtract_left_kernelIhbiN6hipcub3SumELj255ELj1EEvPKT_PT1_,"axG",@progbits,_Z20subtract_left_kernelIhbiN6hipcub3SumELj255ELj1EEvPKT_PT1_,comdat
.Lfunc_end80:
	.size	_Z20subtract_left_kernelIhbiN6hipcub3SumELj255ELj1EEvPKT_PT1_, .Lfunc_end80-_Z20subtract_left_kernelIhbiN6hipcub3SumELj255ELj1EEvPKT_PT1_
                                        ; -- End function
	.set _Z20subtract_left_kernelIhbiN6hipcub3SumELj255ELj1EEvPKT_PT1_.num_vgpr, 3
	.set _Z20subtract_left_kernelIhbiN6hipcub3SumELj255ELj1EEvPKT_PT1_.num_agpr, 0
	.set _Z20subtract_left_kernelIhbiN6hipcub3SumELj255ELj1EEvPKT_PT1_.numbered_sgpr, 9
	.set _Z20subtract_left_kernelIhbiN6hipcub3SumELj255ELj1EEvPKT_PT1_.num_named_barrier, 0
	.set _Z20subtract_left_kernelIhbiN6hipcub3SumELj255ELj1EEvPKT_PT1_.private_seg_size, 0
	.set _Z20subtract_left_kernelIhbiN6hipcub3SumELj255ELj1EEvPKT_PT1_.uses_vcc, 1
	.set _Z20subtract_left_kernelIhbiN6hipcub3SumELj255ELj1EEvPKT_PT1_.uses_flat_scratch, 0
	.set _Z20subtract_left_kernelIhbiN6hipcub3SumELj255ELj1EEvPKT_PT1_.has_dyn_sized_stack, 0
	.set _Z20subtract_left_kernelIhbiN6hipcub3SumELj255ELj1EEvPKT_PT1_.has_recursion, 0
	.set _Z20subtract_left_kernelIhbiN6hipcub3SumELj255ELj1EEvPKT_PT1_.has_indirect_call, 0
	.section	.AMDGPU.csdata,"",@progbits
; Kernel info:
; codeLenInByte = 296
; TotalNumSgprs: 11
; NumVgprs: 3
; ScratchSize: 0
; MemoryBound: 0
; FloatMode: 240
; IeeeMode: 1
; LDSByteSize: 510 bytes/workgroup (compile time only)
; SGPRBlocks: 0
; VGPRBlocks: 0
; NumSGPRsForWavesPerEU: 11
; NumVGPRsForWavesPerEU: 3
; NamedBarCnt: 0
; Occupancy: 16
; WaveLimiterHint : 0
; COMPUTE_PGM_RSRC2:SCRATCH_EN: 0
; COMPUTE_PGM_RSRC2:USER_SGPR: 2
; COMPUTE_PGM_RSRC2:TRAP_HANDLER: 0
; COMPUTE_PGM_RSRC2:TGID_X_EN: 1
; COMPUTE_PGM_RSRC2:TGID_Y_EN: 0
; COMPUTE_PGM_RSRC2:TGID_Z_EN: 0
; COMPUTE_PGM_RSRC2:TIDIG_COMP_CNT: 0
	.section	.text._Z20subtract_left_kernelIjxx10custom_op2Lj162ELj1EEvPKT_PT1_,"axG",@progbits,_Z20subtract_left_kernelIjxx10custom_op2Lj162ELj1EEvPKT_PT1_,comdat
	.protected	_Z20subtract_left_kernelIjxx10custom_op2Lj162ELj1EEvPKT_PT1_ ; -- Begin function _Z20subtract_left_kernelIjxx10custom_op2Lj162ELj1EEvPKT_PT1_
	.globl	_Z20subtract_left_kernelIjxx10custom_op2Lj162ELj1EEvPKT_PT1_
	.p2align	8
	.type	_Z20subtract_left_kernelIjxx10custom_op2Lj162ELj1EEvPKT_PT1_,@function
_Z20subtract_left_kernelIjxx10custom_op2Lj162ELj1EEvPKT_PT1_: ; @_Z20subtract_left_kernelIjxx10custom_op2Lj162ELj1EEvPKT_PT1_
; %bb.0:
	s_load_b128 s[0:3], s[0:1], 0x0
	s_bfe_u32 s4, ttmp6, 0x4000c
	s_and_b32 s5, ttmp6, 15
	s_add_co_i32 s4, s4, 1
	s_getreg_b32 s6, hwreg(HW_REG_IB_STS2, 6, 4)
	s_mul_i32 s4, ttmp9, s4
	v_lshlrev_b32_e32 v3, 2, v0
	s_add_co_i32 s5, s5, s4
	s_cmp_eq_u32 s6, 0
	v_cmp_ne_u32_e32 vcc_lo, 0, v0
	s_cselect_b32 s8, ttmp9, s5
	s_mov_b32 s5, 0
	s_mul_i32 s4, s8, 0xa2
	s_delay_alu instid0(SALU_CYCLE_1)
	s_lshl_b64 s[6:7], s[4:5], 2
	s_bitcmp0_b32 s8, 0
	s_wait_kmcnt 0x0
	s_add_nc_u64 s[6:7], s[0:1], s[6:7]
	global_load_b32 v1, v0, s[6:7] scale_offset
	s_cbranch_scc1 .LBB81_4
; %bb.1:
	s_wait_xcnt 0x0
	s_add_co_i32 s6, s4, -1
	s_wait_loadcnt 0x0
	ds_store_b32 v3, v1
	s_load_b32 s0, s[0:1], s6 offset:0x0 scale_offset
	s_wait_dscnt 0x0
	s_barrier_signal -1
	s_barrier_wait -1
	s_wait_kmcnt 0x0
	v_mov_b32_e32 v2, s0
	s_and_saveexec_b32 s0, vcc_lo
; %bb.2:
	v_add_nc_u32_e32 v2, -4, v3
	ds_load_b32 v2, v2
; %bb.3:
	s_or_b32 exec_lo, exec_lo, s0
	s_wait_dscnt 0x0
	v_lshlrev_b32_e32 v2, 1, v2
	s_delay_alu instid0(VALU_DEP_1)
	v_sub_nc_u32_e32 v2, v2, v1
	s_branch .LBB81_8
.LBB81_4:
                                        ; implicit-def: $vgpr2
	s_cbranch_execz .LBB81_8
; %bb.5:
	s_mov_b32 s0, exec_lo
	s_wait_loadcnt 0x0
	ds_store_b32 v3, v1
	s_wait_dscnt 0x0
	s_barrier_signal -1
	s_barrier_wait -1
	v_cmpx_ne_u32_e32 0, v0
	s_cbranch_execz .LBB81_7
; %bb.6:
	v_add_nc_u32_e32 v2, -4, v3
	ds_load_b32 v2, v2
	s_wait_dscnt 0x0
	v_lshlrev_b32_e32 v2, 1, v2
	s_delay_alu instid0(VALU_DEP_1)
	v_sub_nc_u32_e32 v1, v2, v1
.LBB81_7:
	s_or_b32 exec_lo, exec_lo, s0
	s_delay_alu instid0(VALU_DEP_1)
	v_mov_b32_e32 v2, v1
.LBB81_8:
	v_mov_b32_e32 v3, 0
	s_lshl_b64 s[0:1], s[4:5], 3
	s_delay_alu instid0(SALU_CYCLE_1)
	s_add_nc_u64 s[0:1], s[2:3], s[0:1]
	global_store_b64 v0, v[2:3], s[0:1] scale_offset
	s_endpgm
	.section	.rodata,"a",@progbits
	.p2align	6, 0x0
	.amdhsa_kernel _Z20subtract_left_kernelIjxx10custom_op2Lj162ELj1EEvPKT_PT1_
		.amdhsa_group_segment_fixed_size 1296
		.amdhsa_private_segment_fixed_size 0
		.amdhsa_kernarg_size 16
		.amdhsa_user_sgpr_count 2
		.amdhsa_user_sgpr_dispatch_ptr 0
		.amdhsa_user_sgpr_queue_ptr 0
		.amdhsa_user_sgpr_kernarg_segment_ptr 1
		.amdhsa_user_sgpr_dispatch_id 0
		.amdhsa_user_sgpr_kernarg_preload_length 0
		.amdhsa_user_sgpr_kernarg_preload_offset 0
		.amdhsa_user_sgpr_private_segment_size 0
		.amdhsa_wavefront_size32 1
		.amdhsa_uses_dynamic_stack 0
		.amdhsa_enable_private_segment 0
		.amdhsa_system_sgpr_workgroup_id_x 1
		.amdhsa_system_sgpr_workgroup_id_y 0
		.amdhsa_system_sgpr_workgroup_id_z 0
		.amdhsa_system_sgpr_workgroup_info 0
		.amdhsa_system_vgpr_workitem_id 0
		.amdhsa_next_free_vgpr 4
		.amdhsa_next_free_sgpr 9
		.amdhsa_named_barrier_count 0
		.amdhsa_reserve_vcc 1
		.amdhsa_float_round_mode_32 0
		.amdhsa_float_round_mode_16_64 0
		.amdhsa_float_denorm_mode_32 3
		.amdhsa_float_denorm_mode_16_64 3
		.amdhsa_fp16_overflow 0
		.amdhsa_memory_ordered 1
		.amdhsa_forward_progress 1
		.amdhsa_inst_pref_size 3
		.amdhsa_round_robin_scheduling 0
		.amdhsa_exception_fp_ieee_invalid_op 0
		.amdhsa_exception_fp_denorm_src 0
		.amdhsa_exception_fp_ieee_div_zero 0
		.amdhsa_exception_fp_ieee_overflow 0
		.amdhsa_exception_fp_ieee_underflow 0
		.amdhsa_exception_fp_ieee_inexact 0
		.amdhsa_exception_int_div_zero 0
	.end_amdhsa_kernel
	.section	.text._Z20subtract_left_kernelIjxx10custom_op2Lj162ELj1EEvPKT_PT1_,"axG",@progbits,_Z20subtract_left_kernelIjxx10custom_op2Lj162ELj1EEvPKT_PT1_,comdat
.Lfunc_end81:
	.size	_Z20subtract_left_kernelIjxx10custom_op2Lj162ELj1EEvPKT_PT1_, .Lfunc_end81-_Z20subtract_left_kernelIjxx10custom_op2Lj162ELj1EEvPKT_PT1_
                                        ; -- End function
	.set _Z20subtract_left_kernelIjxx10custom_op2Lj162ELj1EEvPKT_PT1_.num_vgpr, 4
	.set _Z20subtract_left_kernelIjxx10custom_op2Lj162ELj1EEvPKT_PT1_.num_agpr, 0
	.set _Z20subtract_left_kernelIjxx10custom_op2Lj162ELj1EEvPKT_PT1_.numbered_sgpr, 9
	.set _Z20subtract_left_kernelIjxx10custom_op2Lj162ELj1EEvPKT_PT1_.num_named_barrier, 0
	.set _Z20subtract_left_kernelIjxx10custom_op2Lj162ELj1EEvPKT_PT1_.private_seg_size, 0
	.set _Z20subtract_left_kernelIjxx10custom_op2Lj162ELj1EEvPKT_PT1_.uses_vcc, 1
	.set _Z20subtract_left_kernelIjxx10custom_op2Lj162ELj1EEvPKT_PT1_.uses_flat_scratch, 0
	.set _Z20subtract_left_kernelIjxx10custom_op2Lj162ELj1EEvPKT_PT1_.has_dyn_sized_stack, 0
	.set _Z20subtract_left_kernelIjxx10custom_op2Lj162ELj1EEvPKT_PT1_.has_recursion, 0
	.set _Z20subtract_left_kernelIjxx10custom_op2Lj162ELj1EEvPKT_PT1_.has_indirect_call, 0
	.section	.AMDGPU.csdata,"",@progbits
; Kernel info:
; codeLenInByte = 300
; TotalNumSgprs: 11
; NumVgprs: 4
; ScratchSize: 0
; MemoryBound: 0
; FloatMode: 240
; IeeeMode: 1
; LDSByteSize: 1296 bytes/workgroup (compile time only)
; SGPRBlocks: 0
; VGPRBlocks: 0
; NumSGPRsForWavesPerEU: 11
; NumVGPRsForWavesPerEU: 4
; NamedBarCnt: 0
; Occupancy: 16
; WaveLimiterHint : 0
; COMPUTE_PGM_RSRC2:SCRATCH_EN: 0
; COMPUTE_PGM_RSRC2:USER_SGPR: 2
; COMPUTE_PGM_RSRC2:TRAP_HANDLER: 0
; COMPUTE_PGM_RSRC2:TGID_X_EN: 1
; COMPUTE_PGM_RSRC2:TGID_Y_EN: 0
; COMPUTE_PGM_RSRC2:TGID_Z_EN: 0
; COMPUTE_PGM_RSRC2:TIDIG_COMP_CNT: 0
	.section	.text._Z20subtract_left_kernelIxcc10custom_op1Lj510ELj1EEvPKT_PT1_,"axG",@progbits,_Z20subtract_left_kernelIxcc10custom_op1Lj510ELj1EEvPKT_PT1_,comdat
	.protected	_Z20subtract_left_kernelIxcc10custom_op1Lj510ELj1EEvPKT_PT1_ ; -- Begin function _Z20subtract_left_kernelIxcc10custom_op1Lj510ELj1EEvPKT_PT1_
	.globl	_Z20subtract_left_kernelIxcc10custom_op1Lj510ELj1EEvPKT_PT1_
	.p2align	8
	.type	_Z20subtract_left_kernelIxcc10custom_op1Lj510ELj1EEvPKT_PT1_,@function
_Z20subtract_left_kernelIxcc10custom_op1Lj510ELj1EEvPKT_PT1_: ; @_Z20subtract_left_kernelIxcc10custom_op1Lj510ELj1EEvPKT_PT1_
; %bb.0:
	s_load_b128 s[0:3], s[0:1], 0x0
	s_bfe_u32 s4, ttmp6, 0x4000c
	s_and_b32 s5, ttmp6, 15
	s_add_co_i32 s4, s4, 1
	s_getreg_b32 s6, hwreg(HW_REG_IB_STS2, 6, 4)
	s_mul_i32 s4, ttmp9, s4
	v_dual_mov_b32 v1, 0 :: v_dual_lshlrev_b32 v6, 3, v0
	s_add_co_i32 s5, s5, s4
	s_cmp_eq_u32 s6, 0
	v_cmp_ne_u32_e32 vcc_lo, 0, v0
	s_cselect_b32 s8, ttmp9, s5
	s_mov_b32 s5, 0
	s_mul_i32 s4, s8, 0x1fe
	s_delay_alu instid0(SALU_CYCLE_1)
	s_lshl_b64 s[6:7], s[4:5], 3
	s_bitcmp0_b32 s8, 0
	s_wait_kmcnt 0x0
	s_add_nc_u64 s[6:7], s[0:1], s[6:7]
	global_load_b64 v[2:3], v0, s[6:7] scale_offset
	s_cbranch_scc1 .LBB82_5
; %bb.1:
	s_wait_xcnt 0x0
	s_add_co_i32 s6, s4, -1
	s_wait_loadcnt 0x0
	ds_store_b64 v6, v[2:3]
	s_load_b64 s[0:1], s[0:1], s6 offset:0x0 scale_offset
	s_wait_dscnt 0x0
	s_barrier_signal -1
	s_barrier_wait -1
	s_wait_kmcnt 0x0
	v_mov_b64_e32 v[4:5], s[0:1]
	s_and_saveexec_b32 s0, vcc_lo
; %bb.2:
	v_add_nc_u32_e32 v4, -8, v6
	ds_load_b64 v[4:5], v4
; %bb.3:
	s_or_b32 exec_lo, exec_lo, s0
	s_wait_dscnt 0x0
	v_sub_nc_u64_e32 v[4:5], v[2:3], v[4:5]
.LBB82_4:
	s_add_nc_u64 s[0:1], s[2:3], s[4:5]
	s_wait_xcnt 0x0
	v_add_nc_u64_e32 v[0:1], s[0:1], v[0:1]
	global_store_b8 v[0:1], v4, off
	s_endpgm
.LBB82_5:
                                        ; implicit-def: $vgpr4_vgpr5
	s_cbranch_execz .LBB82_4
; %bb.6:
	s_mov_b32 s0, exec_lo
	s_wait_loadcnt 0x0
	ds_store_b64 v6, v[2:3]
	s_wait_dscnt 0x0
	s_barrier_signal -1
	s_barrier_wait -1
	v_cmpx_ne_u32_e32 0, v0
	s_cbranch_execz .LBB82_8
; %bb.7:
	v_add_nc_u32_e32 v4, -8, v6
	ds_load_b64 v[4:5], v4
	s_wait_dscnt 0x0
	v_sub_nc_u64_e32 v[2:3], v[2:3], v[4:5]
.LBB82_8:
	s_or_b32 exec_lo, exec_lo, s0
	s_delay_alu instid0(VALU_DEP_1) | instskip(SKIP_1) | instid1(SALU_CYCLE_1)
	v_mov_b64_e32 v[4:5], v[2:3]
	s_add_nc_u64 s[0:1], s[2:3], s[4:5]
	v_add_nc_u64_e32 v[0:1], s[0:1], v[0:1]
	global_store_b8 v[0:1], v4, off
	s_endpgm
	.section	.rodata,"a",@progbits
	.p2align	6, 0x0
	.amdhsa_kernel _Z20subtract_left_kernelIxcc10custom_op1Lj510ELj1EEvPKT_PT1_
		.amdhsa_group_segment_fixed_size 8160
		.amdhsa_private_segment_fixed_size 0
		.amdhsa_kernarg_size 16
		.amdhsa_user_sgpr_count 2
		.amdhsa_user_sgpr_dispatch_ptr 0
		.amdhsa_user_sgpr_queue_ptr 0
		.amdhsa_user_sgpr_kernarg_segment_ptr 1
		.amdhsa_user_sgpr_dispatch_id 0
		.amdhsa_user_sgpr_kernarg_preload_length 0
		.amdhsa_user_sgpr_kernarg_preload_offset 0
		.amdhsa_user_sgpr_private_segment_size 0
		.amdhsa_wavefront_size32 1
		.amdhsa_uses_dynamic_stack 0
		.amdhsa_enable_private_segment 0
		.amdhsa_system_sgpr_workgroup_id_x 1
		.amdhsa_system_sgpr_workgroup_id_y 0
		.amdhsa_system_sgpr_workgroup_id_z 0
		.amdhsa_system_sgpr_workgroup_info 0
		.amdhsa_system_vgpr_workitem_id 0
		.amdhsa_next_free_vgpr 7
		.amdhsa_next_free_sgpr 9
		.amdhsa_named_barrier_count 0
		.amdhsa_reserve_vcc 1
		.amdhsa_float_round_mode_32 0
		.amdhsa_float_round_mode_16_64 0
		.amdhsa_float_denorm_mode_32 3
		.amdhsa_float_denorm_mode_16_64 3
		.amdhsa_fp16_overflow 0
		.amdhsa_memory_ordered 1
		.amdhsa_forward_progress 1
		.amdhsa_inst_pref_size 3
		.amdhsa_round_robin_scheduling 0
		.amdhsa_exception_fp_ieee_invalid_op 0
		.amdhsa_exception_fp_denorm_src 0
		.amdhsa_exception_fp_ieee_div_zero 0
		.amdhsa_exception_fp_ieee_overflow 0
		.amdhsa_exception_fp_ieee_underflow 0
		.amdhsa_exception_fp_ieee_inexact 0
		.amdhsa_exception_int_div_zero 0
	.end_amdhsa_kernel
	.section	.text._Z20subtract_left_kernelIxcc10custom_op1Lj510ELj1EEvPKT_PT1_,"axG",@progbits,_Z20subtract_left_kernelIxcc10custom_op1Lj510ELj1EEvPKT_PT1_,comdat
.Lfunc_end82:
	.size	_Z20subtract_left_kernelIxcc10custom_op1Lj510ELj1EEvPKT_PT1_, .Lfunc_end82-_Z20subtract_left_kernelIxcc10custom_op1Lj510ELj1EEvPKT_PT1_
                                        ; -- End function
	.set _Z20subtract_left_kernelIxcc10custom_op1Lj510ELj1EEvPKT_PT1_.num_vgpr, 7
	.set _Z20subtract_left_kernelIxcc10custom_op1Lj510ELj1EEvPKT_PT1_.num_agpr, 0
	.set _Z20subtract_left_kernelIxcc10custom_op1Lj510ELj1EEvPKT_PT1_.numbered_sgpr, 9
	.set _Z20subtract_left_kernelIxcc10custom_op1Lj510ELj1EEvPKT_PT1_.num_named_barrier, 0
	.set _Z20subtract_left_kernelIxcc10custom_op1Lj510ELj1EEvPKT_PT1_.private_seg_size, 0
	.set _Z20subtract_left_kernelIxcc10custom_op1Lj510ELj1EEvPKT_PT1_.uses_vcc, 1
	.set _Z20subtract_left_kernelIxcc10custom_op1Lj510ELj1EEvPKT_PT1_.uses_flat_scratch, 0
	.set _Z20subtract_left_kernelIxcc10custom_op1Lj510ELj1EEvPKT_PT1_.has_dyn_sized_stack, 0
	.set _Z20subtract_left_kernelIxcc10custom_op1Lj510ELj1EEvPKT_PT1_.has_recursion, 0
	.set _Z20subtract_left_kernelIxcc10custom_op1Lj510ELj1EEvPKT_PT1_.has_indirect_call, 0
	.section	.AMDGPU.csdata,"",@progbits
; Kernel info:
; codeLenInByte = 304
; TotalNumSgprs: 11
; NumVgprs: 7
; ScratchSize: 0
; MemoryBound: 0
; FloatMode: 240
; IeeeMode: 1
; LDSByteSize: 8160 bytes/workgroup (compile time only)
; SGPRBlocks: 0
; VGPRBlocks: 0
; NumSGPRsForWavesPerEU: 11
; NumVGPRsForWavesPerEU: 7
; NamedBarCnt: 0
; Occupancy: 16
; WaveLimiterHint : 0
; COMPUTE_PGM_RSRC2:SCRATCH_EN: 0
; COMPUTE_PGM_RSRC2:USER_SGPR: 2
; COMPUTE_PGM_RSRC2:TRAP_HANDLER: 0
; COMPUTE_PGM_RSRC2:TGID_X_EN: 1
; COMPUTE_PGM_RSRC2:TGID_Y_EN: 0
; COMPUTE_PGM_RSRC2:TGID_Z_EN: 0
; COMPUTE_PGM_RSRC2:TIDIG_COMP_CNT: 0
	.section	.text._Z20subtract_left_kernelIfiiN6hipcub3SumELj37ELj1EEvPKT_PT1_,"axG",@progbits,_Z20subtract_left_kernelIfiiN6hipcub3SumELj37ELj1EEvPKT_PT1_,comdat
	.protected	_Z20subtract_left_kernelIfiiN6hipcub3SumELj37ELj1EEvPKT_PT1_ ; -- Begin function _Z20subtract_left_kernelIfiiN6hipcub3SumELj37ELj1EEvPKT_PT1_
	.globl	_Z20subtract_left_kernelIfiiN6hipcub3SumELj37ELj1EEvPKT_PT1_
	.p2align	8
	.type	_Z20subtract_left_kernelIfiiN6hipcub3SumELj37ELj1EEvPKT_PT1_,@function
_Z20subtract_left_kernelIfiiN6hipcub3SumELj37ELj1EEvPKT_PT1_: ; @_Z20subtract_left_kernelIfiiN6hipcub3SumELj37ELj1EEvPKT_PT1_
; %bb.0:
	s_load_b128 s[0:3], s[0:1], 0x0
	s_bfe_u32 s4, ttmp6, 0x4000c
	s_and_b32 s5, ttmp6, 15
	s_add_co_i32 s4, s4, 1
	s_getreg_b32 s6, hwreg(HW_REG_IB_STS2, 6, 4)
	s_mul_i32 s4, ttmp9, s4
	s_mov_b32 s7, 0
	s_add_co_i32 s5, s5, s4
	s_cmp_eq_u32 s6, 0
	v_lshlrev_b32_e32 v2, 2, v0
	s_cselect_b32 s10, ttmp9, s5
	v_cmp_ne_u32_e32 vcc_lo, 0, v0
	s_mul_i32 s6, s10, 37
	s_delay_alu instid0(SALU_CYCLE_1)
	s_lshl_b64 s[4:5], s[6:7], 2
	s_bitcmp0_b32 s10, 0
	s_wait_kmcnt 0x0
	s_add_nc_u64 s[8:9], s[0:1], s[4:5]
	global_load_b32 v1, v0, s[8:9] scale_offset
	s_cbranch_scc1 .LBB83_5
; %bb.1:
	s_add_co_i32 s6, s6, -1
	s_wait_loadcnt 0x0
	ds_store_b32 v2, v1
	s_load_b32 s0, s[0:1], s6 offset:0x0 scale_offset
	s_wait_dscnt 0x0
	s_barrier_signal -1
	s_barrier_wait -1
	s_wait_kmcnt 0x0
	v_mov_b32_e32 v3, s0
	s_and_saveexec_b32 s0, vcc_lo
; %bb.2:
	v_add_nc_u32_e32 v3, -4, v2
	ds_load_b32 v3, v3
; %bb.3:
	s_or_b32 exec_lo, exec_lo, s0
	s_wait_dscnt 0x0
	v_add_f32_e32 v3, v1, v3
.LBB83_4:
	s_wait_loadcnt 0x0
	s_delay_alu instid0(VALU_DEP_1)
	v_cvt_i32_f32_e32 v1, v3
	s_add_nc_u64 s[0:1], s[2:3], s[4:5]
	global_store_b32 v0, v1, s[0:1] scale_offset
	s_endpgm
.LBB83_5:
                                        ; implicit-def: $vgpr3
	s_cbranch_execz .LBB83_4
; %bb.6:
	s_mov_b32 s0, exec_lo
	s_wait_loadcnt 0x0
	ds_store_b32 v2, v1
	s_wait_dscnt 0x0
	s_barrier_signal -1
	s_barrier_wait -1
	v_cmpx_ne_u32_e32 0, v0
	s_cbranch_execz .LBB83_8
; %bb.7:
	v_add_nc_u32_e32 v2, -4, v2
	ds_load_b32 v2, v2
	s_wait_dscnt 0x0
	v_add_f32_e32 v1, v1, v2
.LBB83_8:
	s_or_b32 exec_lo, exec_lo, s0
	s_delay_alu instid0(VALU_DEP_1) | instskip(NEXT) | instid1(VALU_DEP_1)
	v_mov_b32_e32 v3, v1
	v_cvt_i32_f32_e32 v1, v3
	s_add_nc_u64 s[0:1], s[2:3], s[4:5]
	global_store_b32 v0, v1, s[0:1] scale_offset
	s_endpgm
	.section	.rodata,"a",@progbits
	.p2align	6, 0x0
	.amdhsa_kernel _Z20subtract_left_kernelIfiiN6hipcub3SumELj37ELj1EEvPKT_PT1_
		.amdhsa_group_segment_fixed_size 296
		.amdhsa_private_segment_fixed_size 0
		.amdhsa_kernarg_size 16
		.amdhsa_user_sgpr_count 2
		.amdhsa_user_sgpr_dispatch_ptr 0
		.amdhsa_user_sgpr_queue_ptr 0
		.amdhsa_user_sgpr_kernarg_segment_ptr 1
		.amdhsa_user_sgpr_dispatch_id 0
		.amdhsa_user_sgpr_kernarg_preload_length 0
		.amdhsa_user_sgpr_kernarg_preload_offset 0
		.amdhsa_user_sgpr_private_segment_size 0
		.amdhsa_wavefront_size32 1
		.amdhsa_uses_dynamic_stack 0
		.amdhsa_enable_private_segment 0
		.amdhsa_system_sgpr_workgroup_id_x 1
		.amdhsa_system_sgpr_workgroup_id_y 0
		.amdhsa_system_sgpr_workgroup_id_z 0
		.amdhsa_system_sgpr_workgroup_info 0
		.amdhsa_system_vgpr_workitem_id 0
		.amdhsa_next_free_vgpr 4
		.amdhsa_next_free_sgpr 11
		.amdhsa_named_barrier_count 0
		.amdhsa_reserve_vcc 1
		.amdhsa_float_round_mode_32 0
		.amdhsa_float_round_mode_16_64 0
		.amdhsa_float_denorm_mode_32 3
		.amdhsa_float_denorm_mode_16_64 3
		.amdhsa_fp16_overflow 0
		.amdhsa_memory_ordered 1
		.amdhsa_forward_progress 1
		.amdhsa_inst_pref_size 3
		.amdhsa_round_robin_scheduling 0
		.amdhsa_exception_fp_ieee_invalid_op 0
		.amdhsa_exception_fp_denorm_src 0
		.amdhsa_exception_fp_ieee_div_zero 0
		.amdhsa_exception_fp_ieee_overflow 0
		.amdhsa_exception_fp_ieee_underflow 0
		.amdhsa_exception_fp_ieee_inexact 0
		.amdhsa_exception_int_div_zero 0
	.end_amdhsa_kernel
	.section	.text._Z20subtract_left_kernelIfiiN6hipcub3SumELj37ELj1EEvPKT_PT1_,"axG",@progbits,_Z20subtract_left_kernelIfiiN6hipcub3SumELj37ELj1EEvPKT_PT1_,comdat
.Lfunc_end83:
	.size	_Z20subtract_left_kernelIfiiN6hipcub3SumELj37ELj1EEvPKT_PT1_, .Lfunc_end83-_Z20subtract_left_kernelIfiiN6hipcub3SumELj37ELj1EEvPKT_PT1_
                                        ; -- End function
	.set _Z20subtract_left_kernelIfiiN6hipcub3SumELj37ELj1EEvPKT_PT1_.num_vgpr, 4
	.set _Z20subtract_left_kernelIfiiN6hipcub3SumELj37ELj1EEvPKT_PT1_.num_agpr, 0
	.set _Z20subtract_left_kernelIfiiN6hipcub3SumELj37ELj1EEvPKT_PT1_.numbered_sgpr, 11
	.set _Z20subtract_left_kernelIfiiN6hipcub3SumELj37ELj1EEvPKT_PT1_.num_named_barrier, 0
	.set _Z20subtract_left_kernelIfiiN6hipcub3SumELj37ELj1EEvPKT_PT1_.private_seg_size, 0
	.set _Z20subtract_left_kernelIfiiN6hipcub3SumELj37ELj1EEvPKT_PT1_.uses_vcc, 1
	.set _Z20subtract_left_kernelIfiiN6hipcub3SumELj37ELj1EEvPKT_PT1_.uses_flat_scratch, 0
	.set _Z20subtract_left_kernelIfiiN6hipcub3SumELj37ELj1EEvPKT_PT1_.has_dyn_sized_stack, 0
	.set _Z20subtract_left_kernelIfiiN6hipcub3SumELj37ELj1EEvPKT_PT1_.has_recursion, 0
	.set _Z20subtract_left_kernelIfiiN6hipcub3SumELj37ELj1EEvPKT_PT1_.has_indirect_call, 0
	.section	.AMDGPU.csdata,"",@progbits
; Kernel info:
; codeLenInByte = 296
; TotalNumSgprs: 13
; NumVgprs: 4
; ScratchSize: 0
; MemoryBound: 0
; FloatMode: 240
; IeeeMode: 1
; LDSByteSize: 296 bytes/workgroup (compile time only)
; SGPRBlocks: 0
; VGPRBlocks: 0
; NumSGPRsForWavesPerEU: 13
; NumVGPRsForWavesPerEU: 4
; NamedBarCnt: 0
; Occupancy: 16
; WaveLimiterHint : 0
; COMPUTE_PGM_RSRC2:SCRATCH_EN: 0
; COMPUTE_PGM_RSRC2:USER_SGPR: 2
; COMPUTE_PGM_RSRC2:TRAP_HANDLER: 0
; COMPUTE_PGM_RSRC2:TGID_X_EN: 1
; COMPUTE_PGM_RSRC2:TGID_Y_EN: 0
; COMPUTE_PGM_RSRC2:TGID_Z_EN: 0
; COMPUTE_PGM_RSRC2:TIDIG_COMP_CNT: 0
	.section	.text._Z20subtract_left_kernelIibi10custom_op1Lj256ELj1EEvPKT_PT1_,"axG",@progbits,_Z20subtract_left_kernelIibi10custom_op1Lj256ELj1EEvPKT_PT1_,comdat
	.protected	_Z20subtract_left_kernelIibi10custom_op1Lj256ELj1EEvPKT_PT1_ ; -- Begin function _Z20subtract_left_kernelIibi10custom_op1Lj256ELj1EEvPKT_PT1_
	.globl	_Z20subtract_left_kernelIibi10custom_op1Lj256ELj1EEvPKT_PT1_
	.p2align	8
	.type	_Z20subtract_left_kernelIibi10custom_op1Lj256ELj1EEvPKT_PT1_,@function
_Z20subtract_left_kernelIibi10custom_op1Lj256ELj1EEvPKT_PT1_: ; @_Z20subtract_left_kernelIibi10custom_op1Lj256ELj1EEvPKT_PT1_
; %bb.0:
	s_load_b128 s[0:3], s[0:1], 0x0
	s_bfe_u32 s4, ttmp6, 0x4000c
	s_and_b32 s5, ttmp6, 15
	s_add_co_i32 s4, s4, 1
	s_getreg_b32 s6, hwreg(HW_REG_IB_STS2, 6, 4)
	s_mul_i32 s4, ttmp9, s4
	s_mov_b32 s7, 0
	s_add_co_i32 s5, s5, s4
	s_cmp_eq_u32 s6, 0
	v_lshlrev_b32_e32 v2, 2, v0
	s_cselect_b32 s10, ttmp9, s5
	v_cmp_ne_u32_e32 vcc_lo, 0, v0
	s_lshl_b32 s6, s10, 8
	s_delay_alu instid0(SALU_CYCLE_1)
	s_lshl_b64 s[4:5], s[6:7], 2
	s_bitcmp0_b32 s10, 0
	s_wait_kmcnt 0x0
	s_add_nc_u64 s[8:9], s[0:1], s[4:5]
	global_load_b32 v1, v0, s[8:9] scale_offset
	s_cbranch_scc1 .LBB84_2
; %bb.1:
	s_add_co_i32 s6, s6, -1
	s_and_b32 s7, vcc_lo, exec_lo
	s_load_b32 s0, s[0:1], s6 offset:0x0 scale_offset
	s_wait_xcnt 0x0
	s_wait_loadcnt 0x0
	ds_store_b32 v2, v1
	s_wait_dscnt 0x0
	s_barrier_signal -1
	s_barrier_wait -1
	s_cbranch_execz .LBB84_3
	s_branch .LBB84_4
.LBB84_2:
                                        ; implicit-def: $sgpr0
.LBB84_3:
	v_cmp_ne_u32_e32 vcc_lo, 0, v0
	s_and_not1_b32 s1, s7, exec_lo
	s_wait_kmcnt 0x0
	s_mov_b32 s0, 0
	s_wait_loadcnt 0x0
	ds_store_b32 v2, v1
	s_wait_dscnt 0x0
	s_and_b32 s6, vcc_lo, exec_lo
	s_barrier_signal -1
	s_or_b32 s7, s1, s6
	s_barrier_wait -1
.LBB84_4:
	s_wait_kmcnt 0x0
	v_mov_b32_e32 v2, s0
	s_wait_xcnt 0x0
	s_and_saveexec_b32 s0, s7
; %bb.5:
	v_lshl_add_u32 v2, v0, 2, -4
	ds_load_b32 v2, v2
; %bb.6:
	s_or_b32 exec_lo, exec_lo, s0
	s_wait_loadcnt_dscnt 0x0
	v_cmp_ne_u32_e32 vcc_lo, v1, v2
	s_add_nc_u64 s[0:1], s[2:3], s[4:5]
	v_cndmask_b32_e64 v1, 0, 1, vcc_lo
	global_store_b32 v0, v1, s[0:1] scale_offset
	s_endpgm
	.section	.rodata,"a",@progbits
	.p2align	6, 0x0
	.amdhsa_kernel _Z20subtract_left_kernelIibi10custom_op1Lj256ELj1EEvPKT_PT1_
		.amdhsa_group_segment_fixed_size 2048
		.amdhsa_private_segment_fixed_size 0
		.amdhsa_kernarg_size 16
		.amdhsa_user_sgpr_count 2
		.amdhsa_user_sgpr_dispatch_ptr 0
		.amdhsa_user_sgpr_queue_ptr 0
		.amdhsa_user_sgpr_kernarg_segment_ptr 1
		.amdhsa_user_sgpr_dispatch_id 0
		.amdhsa_user_sgpr_kernarg_preload_length 0
		.amdhsa_user_sgpr_kernarg_preload_offset 0
		.amdhsa_user_sgpr_private_segment_size 0
		.amdhsa_wavefront_size32 1
		.amdhsa_uses_dynamic_stack 0
		.amdhsa_enable_private_segment 0
		.amdhsa_system_sgpr_workgroup_id_x 1
		.amdhsa_system_sgpr_workgroup_id_y 0
		.amdhsa_system_sgpr_workgroup_id_z 0
		.amdhsa_system_sgpr_workgroup_info 0
		.amdhsa_system_vgpr_workitem_id 0
		.amdhsa_next_free_vgpr 3
		.amdhsa_next_free_sgpr 11
		.amdhsa_named_barrier_count 0
		.amdhsa_reserve_vcc 1
		.amdhsa_float_round_mode_32 0
		.amdhsa_float_round_mode_16_64 0
		.amdhsa_float_denorm_mode_32 3
		.amdhsa_float_denorm_mode_16_64 3
		.amdhsa_fp16_overflow 0
		.amdhsa_memory_ordered 1
		.amdhsa_forward_progress 1
		.amdhsa_inst_pref_size 3
		.amdhsa_round_robin_scheduling 0
		.amdhsa_exception_fp_ieee_invalid_op 0
		.amdhsa_exception_fp_denorm_src 0
		.amdhsa_exception_fp_ieee_div_zero 0
		.amdhsa_exception_fp_ieee_overflow 0
		.amdhsa_exception_fp_ieee_underflow 0
		.amdhsa_exception_fp_ieee_inexact 0
		.amdhsa_exception_int_div_zero 0
	.end_amdhsa_kernel
	.section	.text._Z20subtract_left_kernelIibi10custom_op1Lj256ELj1EEvPKT_PT1_,"axG",@progbits,_Z20subtract_left_kernelIibi10custom_op1Lj256ELj1EEvPKT_PT1_,comdat
.Lfunc_end84:
	.size	_Z20subtract_left_kernelIibi10custom_op1Lj256ELj1EEvPKT_PT1_, .Lfunc_end84-_Z20subtract_left_kernelIibi10custom_op1Lj256ELj1EEvPKT_PT1_
                                        ; -- End function
	.set _Z20subtract_left_kernelIibi10custom_op1Lj256ELj1EEvPKT_PT1_.num_vgpr, 3
	.set _Z20subtract_left_kernelIibi10custom_op1Lj256ELj1EEvPKT_PT1_.num_agpr, 0
	.set _Z20subtract_left_kernelIibi10custom_op1Lj256ELj1EEvPKT_PT1_.numbered_sgpr, 11
	.set _Z20subtract_left_kernelIibi10custom_op1Lj256ELj1EEvPKT_PT1_.num_named_barrier, 0
	.set _Z20subtract_left_kernelIibi10custom_op1Lj256ELj1EEvPKT_PT1_.private_seg_size, 0
	.set _Z20subtract_left_kernelIibi10custom_op1Lj256ELj1EEvPKT_PT1_.uses_vcc, 1
	.set _Z20subtract_left_kernelIibi10custom_op1Lj256ELj1EEvPKT_PT1_.uses_flat_scratch, 0
	.set _Z20subtract_left_kernelIibi10custom_op1Lj256ELj1EEvPKT_PT1_.has_dyn_sized_stack, 0
	.set _Z20subtract_left_kernelIibi10custom_op1Lj256ELj1EEvPKT_PT1_.has_recursion, 0
	.set _Z20subtract_left_kernelIibi10custom_op1Lj256ELj1EEvPKT_PT1_.has_indirect_call, 0
	.section	.AMDGPU.csdata,"",@progbits
; Kernel info:
; codeLenInByte = 268
; TotalNumSgprs: 13
; NumVgprs: 3
; ScratchSize: 0
; MemoryBound: 0
; FloatMode: 240
; IeeeMode: 1
; LDSByteSize: 2048 bytes/workgroup (compile time only)
; SGPRBlocks: 0
; VGPRBlocks: 0
; NumSGPRsForWavesPerEU: 13
; NumVGPRsForWavesPerEU: 3
; NamedBarCnt: 0
; Occupancy: 16
; WaveLimiterHint : 0
; COMPUTE_PGM_RSRC2:SCRATCH_EN: 0
; COMPUTE_PGM_RSRC2:USER_SGPR: 2
; COMPUTE_PGM_RSRC2:TRAP_HANDLER: 0
; COMPUTE_PGM_RSRC2:TGID_X_EN: 1
; COMPUTE_PGM_RSRC2:TGID_Y_EN: 0
; COMPUTE_PGM_RSRC2:TGID_Z_EN: 0
; COMPUTE_PGM_RSRC2:TIDIG_COMP_CNT: 0
	.section	.text._Z20subtract_left_kernelI12hip_bfloat16ii10custom_op2Lj256ELj1EEvPKT_PT1_,"axG",@progbits,_Z20subtract_left_kernelI12hip_bfloat16ii10custom_op2Lj256ELj1EEvPKT_PT1_,comdat
	.protected	_Z20subtract_left_kernelI12hip_bfloat16ii10custom_op2Lj256ELj1EEvPKT_PT1_ ; -- Begin function _Z20subtract_left_kernelI12hip_bfloat16ii10custom_op2Lj256ELj1EEvPKT_PT1_
	.globl	_Z20subtract_left_kernelI12hip_bfloat16ii10custom_op2Lj256ELj1EEvPKT_PT1_
	.p2align	8
	.type	_Z20subtract_left_kernelI12hip_bfloat16ii10custom_op2Lj256ELj1EEvPKT_PT1_,@function
_Z20subtract_left_kernelI12hip_bfloat16ii10custom_op2Lj256ELj1EEvPKT_PT1_: ; @_Z20subtract_left_kernelI12hip_bfloat16ii10custom_op2Lj256ELj1EEvPKT_PT1_
; %bb.0:
	s_load_b128 s[0:3], s[0:1], 0x0
	s_bfe_u32 s4, ttmp6, 0x4000c
	s_and_b32 s5, ttmp6, 15
	s_add_co_i32 s4, s4, 1
	s_getreg_b32 s6, hwreg(HW_REG_IB_STS2, 6, 4)
	s_mul_i32 s4, ttmp9, s4
	v_lshlrev_b32_e32 v1, 1, v0
	s_add_co_i32 s5, s5, s4
	s_cmp_eq_u32 s6, 0
	v_cmp_ne_u32_e32 vcc_lo, 0, v0
	s_cselect_b32 s8, ttmp9, s5
	s_mov_b32 s5, 0
	s_lshl_b32 s4, s8, 8
	s_delay_alu instid0(SALU_CYCLE_1)
	s_lshl_b64 s[6:7], s[4:5], 1
	s_bitcmp0_b32 s8, 0
	s_wait_kmcnt 0x0
	s_add_nc_u64 s[6:7], s[0:1], s[6:7]
	global_load_u16 v2, v0, s[6:7] scale_offset
	s_cbranch_scc1 .LBB85_12
; %bb.1:
	s_wait_xcnt 0x0
	s_add_co_i32 s6, s4, -1
	s_wait_loadcnt 0x0
	ds_store_b16 v1, v2
	v_mov_b32_e32 v3, s6
	global_load_u16 v3, v3, s[0:1] scale_offset
	s_wait_loadcnt_dscnt 0x0
	s_barrier_signal -1
	s_barrier_wait -1
	s_and_saveexec_b32 s0, vcc_lo
; %bb.2:
	v_add_nc_u32_e32 v3, -2, v1
	ds_load_u16 v3, v3
; %bb.3:
	s_or_b32 exec_lo, exec_lo, s0
	s_wait_dscnt 0x0
	v_lshlrev_b32_e32 v3, 16, v3
	s_delay_alu instid0(VALU_DEP_1) | instskip(NEXT) | instid1(VALU_DEP_1)
	v_add_f32_e32 v3, v3, v3
	v_and_b32_e32 v4, 0x7f800000, v3
	s_delay_alu instid0(VALU_DEP_1) | instskip(SKIP_1) | instid1(SALU_CYCLE_1)
	v_cmp_ne_u32_e32 vcc_lo, 0x7f800000, v4
                                        ; implicit-def: $vgpr4
	s_and_saveexec_b32 s0, vcc_lo
	s_xor_b32 s0, exec_lo, s0
; %bb.4:
	v_bfe_u32 v4, v3, 16, 1
	s_delay_alu instid0(VALU_DEP_1)
	v_add3_u32 v4, v3, v4, 0x7fff
                                        ; implicit-def: $vgpr3
; %bb.5:
	s_and_not1_saveexec_b32 s0, s0
; %bb.6:
	v_and_b32_e32 v4, 0xffff, v3
	v_or_b32_e32 v5, 0x10000, v3
	s_delay_alu instid0(VALU_DEP_2) | instskip(NEXT) | instid1(VALU_DEP_2)
	v_cmp_eq_u32_e32 vcc_lo, 0, v4
	v_cndmask_b32_e32 v4, v5, v3, vcc_lo
; %bb.7:
	s_or_b32 exec_lo, exec_lo, s0
	s_delay_alu instid0(VALU_DEP_1) | instskip(SKIP_1) | instid1(VALU_DEP_1)
	v_and_b32_e32 v3, 0xffff0000, v4
	v_lshlrev_b32_e32 v4, 16, v2
	v_sub_f32_e32 v3, v3, v4
	s_delay_alu instid0(VALU_DEP_1) | instskip(NEXT) | instid1(VALU_DEP_1)
	v_and_b32_e32 v4, 0x7f800000, v3
	v_cmp_ne_u32_e32 vcc_lo, 0x7f800000, v4
                                        ; implicit-def: $vgpr4
	s_and_saveexec_b32 s0, vcc_lo
	s_delay_alu instid0(SALU_CYCLE_1)
	s_xor_b32 s0, exec_lo, s0
; %bb.8:
	v_bfe_u32 v4, v3, 16, 1
	s_delay_alu instid0(VALU_DEP_1)
	v_add3_u32 v4, v3, v4, 0x7fff
                                        ; implicit-def: $vgpr3
; %bb.9:
	s_and_not1_saveexec_b32 s0, s0
; %bb.10:
	v_and_b32_e32 v4, 0xffff, v3
	v_or_b32_e32 v5, 0x10000, v3
	s_delay_alu instid0(VALU_DEP_2) | instskip(NEXT) | instid1(VALU_DEP_2)
	v_cmp_eq_u32_e32 vcc_lo, 0, v4
	v_cndmask_b32_e32 v4, v5, v3, vcc_lo
; %bb.11:
	s_or_b32 exec_lo, exec_lo, s0
	s_delay_alu instid0(VALU_DEP_1)
	v_and_b32_e32 v3, 0xffff0000, v4
	s_branch .LBB85_24
.LBB85_12:
                                        ; implicit-def: $vgpr3
	s_cbranch_execz .LBB85_24
; %bb.13:
	s_wait_loadcnt 0x0
	v_lshlrev_b32_e32 v3, 16, v2
	s_mov_b32 s0, exec_lo
	ds_store_b16 v1, v2
	s_wait_dscnt 0x0
	s_barrier_signal -1
	s_barrier_wait -1
	v_cmpx_ne_u32_e32 0, v0
	s_cbranch_execz .LBB85_23
; %bb.14:
	v_add_nc_u32_e32 v1, -2, v1
	ds_load_u16 v1, v1
	s_wait_dscnt 0x0
	v_lshlrev_b32_e32 v1, 16, v1
	s_delay_alu instid0(VALU_DEP_1) | instskip(NEXT) | instid1(VALU_DEP_1)
	v_add_f32_e32 v1, v1, v1
	v_and_b32_e32 v2, 0x7f800000, v1
	s_delay_alu instid0(VALU_DEP_1) | instskip(SKIP_1) | instid1(SALU_CYCLE_1)
	v_cmp_ne_u32_e32 vcc_lo, 0x7f800000, v2
                                        ; implicit-def: $vgpr2
	s_and_saveexec_b32 s1, vcc_lo
	s_xor_b32 s1, exec_lo, s1
; %bb.15:
	v_bfe_u32 v2, v1, 16, 1
	s_delay_alu instid0(VALU_DEP_1)
	v_add3_u32 v2, v1, v2, 0x7fff
                                        ; implicit-def: $vgpr1
; %bb.16:
	s_and_not1_saveexec_b32 s1, s1
; %bb.17:
	v_and_b32_e32 v2, 0xffff, v1
	v_or_b32_e32 v4, 0x10000, v1
	s_delay_alu instid0(VALU_DEP_2) | instskip(NEXT) | instid1(VALU_DEP_2)
	v_cmp_eq_u32_e32 vcc_lo, 0, v2
	v_cndmask_b32_e32 v2, v4, v1, vcc_lo
; %bb.18:
	s_or_b32 exec_lo, exec_lo, s1
	s_delay_alu instid0(VALU_DEP_1) | instskip(NEXT) | instid1(VALU_DEP_1)
	v_and_b32_e32 v1, 0xffff0000, v2
	v_sub_f32_e32 v1, v1, v3
	s_delay_alu instid0(VALU_DEP_1) | instskip(NEXT) | instid1(VALU_DEP_1)
	v_and_b32_e32 v2, 0x7f800000, v1
	v_cmp_ne_u32_e32 vcc_lo, 0x7f800000, v2
                                        ; implicit-def: $vgpr2
	s_and_saveexec_b32 s1, vcc_lo
	s_delay_alu instid0(SALU_CYCLE_1)
	s_xor_b32 s1, exec_lo, s1
; %bb.19:
	v_bfe_u32 v2, v1, 16, 1
	s_delay_alu instid0(VALU_DEP_1)
	v_add3_u32 v2, v1, v2, 0x7fff
                                        ; implicit-def: $vgpr1
; %bb.20:
	s_and_not1_saveexec_b32 s1, s1
; %bb.21:
	v_and_b32_e32 v2, 0xffff, v1
	v_or_b32_e32 v3, 0x10000, v1
	s_delay_alu instid0(VALU_DEP_2) | instskip(NEXT) | instid1(VALU_DEP_2)
	v_cmp_eq_u32_e32 vcc_lo, 0, v2
	v_cndmask_b32_e32 v2, v3, v1, vcc_lo
; %bb.22:
	s_or_b32 exec_lo, exec_lo, s1
	s_delay_alu instid0(VALU_DEP_1)
	v_and_b32_e32 v3, 0xffff0000, v2
.LBB85_23:
	s_or_b32 exec_lo, exec_lo, s0
.LBB85_24:
	s_delay_alu instid0(VALU_DEP_1) | instskip(SKIP_1) | instid1(SALU_CYCLE_1)
	v_cvt_i32_f32_e32 v1, v3
	s_lshl_b64 s[0:1], s[4:5], 2
	s_add_nc_u64 s[0:1], s[2:3], s[0:1]
	global_store_b32 v0, v1, s[0:1] scale_offset
	s_endpgm
	.section	.rodata,"a",@progbits
	.p2align	6, 0x0
	.amdhsa_kernel _Z20subtract_left_kernelI12hip_bfloat16ii10custom_op2Lj256ELj1EEvPKT_PT1_
		.amdhsa_group_segment_fixed_size 1024
		.amdhsa_private_segment_fixed_size 0
		.amdhsa_kernarg_size 16
		.amdhsa_user_sgpr_count 2
		.amdhsa_user_sgpr_dispatch_ptr 0
		.amdhsa_user_sgpr_queue_ptr 0
		.amdhsa_user_sgpr_kernarg_segment_ptr 1
		.amdhsa_user_sgpr_dispatch_id 0
		.amdhsa_user_sgpr_kernarg_preload_length 0
		.amdhsa_user_sgpr_kernarg_preload_offset 0
		.amdhsa_user_sgpr_private_segment_size 0
		.amdhsa_wavefront_size32 1
		.amdhsa_uses_dynamic_stack 0
		.amdhsa_enable_private_segment 0
		.amdhsa_system_sgpr_workgroup_id_x 1
		.amdhsa_system_sgpr_workgroup_id_y 0
		.amdhsa_system_sgpr_workgroup_id_z 0
		.amdhsa_system_sgpr_workgroup_info 0
		.amdhsa_system_vgpr_workitem_id 0
		.amdhsa_next_free_vgpr 6
		.amdhsa_next_free_sgpr 9
		.amdhsa_named_barrier_count 0
		.amdhsa_reserve_vcc 1
		.amdhsa_float_round_mode_32 0
		.amdhsa_float_round_mode_16_64 0
		.amdhsa_float_denorm_mode_32 3
		.amdhsa_float_denorm_mode_16_64 3
		.amdhsa_fp16_overflow 0
		.amdhsa_memory_ordered 1
		.amdhsa_forward_progress 1
		.amdhsa_inst_pref_size 6
		.amdhsa_round_robin_scheduling 0
		.amdhsa_exception_fp_ieee_invalid_op 0
		.amdhsa_exception_fp_denorm_src 0
		.amdhsa_exception_fp_ieee_div_zero 0
		.amdhsa_exception_fp_ieee_overflow 0
		.amdhsa_exception_fp_ieee_underflow 0
		.amdhsa_exception_fp_ieee_inexact 0
		.amdhsa_exception_int_div_zero 0
	.end_amdhsa_kernel
	.section	.text._Z20subtract_left_kernelI12hip_bfloat16ii10custom_op2Lj256ELj1EEvPKT_PT1_,"axG",@progbits,_Z20subtract_left_kernelI12hip_bfloat16ii10custom_op2Lj256ELj1EEvPKT_PT1_,comdat
.Lfunc_end85:
	.size	_Z20subtract_left_kernelI12hip_bfloat16ii10custom_op2Lj256ELj1EEvPKT_PT1_, .Lfunc_end85-_Z20subtract_left_kernelI12hip_bfloat16ii10custom_op2Lj256ELj1EEvPKT_PT1_
                                        ; -- End function
	.set _Z20subtract_left_kernelI12hip_bfloat16ii10custom_op2Lj256ELj1EEvPKT_PT1_.num_vgpr, 6
	.set _Z20subtract_left_kernelI12hip_bfloat16ii10custom_op2Lj256ELj1EEvPKT_PT1_.num_agpr, 0
	.set _Z20subtract_left_kernelI12hip_bfloat16ii10custom_op2Lj256ELj1EEvPKT_PT1_.numbered_sgpr, 9
	.set _Z20subtract_left_kernelI12hip_bfloat16ii10custom_op2Lj256ELj1EEvPKT_PT1_.num_named_barrier, 0
	.set _Z20subtract_left_kernelI12hip_bfloat16ii10custom_op2Lj256ELj1EEvPKT_PT1_.private_seg_size, 0
	.set _Z20subtract_left_kernelI12hip_bfloat16ii10custom_op2Lj256ELj1EEvPKT_PT1_.uses_vcc, 1
	.set _Z20subtract_left_kernelI12hip_bfloat16ii10custom_op2Lj256ELj1EEvPKT_PT1_.uses_flat_scratch, 0
	.set _Z20subtract_left_kernelI12hip_bfloat16ii10custom_op2Lj256ELj1EEvPKT_PT1_.has_dyn_sized_stack, 0
	.set _Z20subtract_left_kernelI12hip_bfloat16ii10custom_op2Lj256ELj1EEvPKT_PT1_.has_recursion, 0
	.set _Z20subtract_left_kernelI12hip_bfloat16ii10custom_op2Lj256ELj1EEvPKT_PT1_.has_indirect_call, 0
	.section	.AMDGPU.csdata,"",@progbits
; Kernel info:
; codeLenInByte = 712
; TotalNumSgprs: 11
; NumVgprs: 6
; ScratchSize: 0
; MemoryBound: 0
; FloatMode: 240
; IeeeMode: 1
; LDSByteSize: 1024 bytes/workgroup (compile time only)
; SGPRBlocks: 0
; VGPRBlocks: 0
; NumSGPRsForWavesPerEU: 11
; NumVGPRsForWavesPerEU: 6
; NamedBarCnt: 0
; Occupancy: 16
; WaveLimiterHint : 0
; COMPUTE_PGM_RSRC2:SCRATCH_EN: 0
; COMPUTE_PGM_RSRC2:USER_SGPR: 2
; COMPUTE_PGM_RSRC2:TRAP_HANDLER: 0
; COMPUTE_PGM_RSRC2:TGID_X_EN: 1
; COMPUTE_PGM_RSRC2:TGID_Y_EN: 0
; COMPUTE_PGM_RSRC2:TGID_Z_EN: 0
; COMPUTE_PGM_RSRC2:TIDIG_COMP_CNT: 0
	.section	.text._Z20subtract_left_kernelI6__halfii10custom_op1Lj256ELj1EEvPKT_PT1_,"axG",@progbits,_Z20subtract_left_kernelI6__halfii10custom_op1Lj256ELj1EEvPKT_PT1_,comdat
	.protected	_Z20subtract_left_kernelI6__halfii10custom_op1Lj256ELj1EEvPKT_PT1_ ; -- Begin function _Z20subtract_left_kernelI6__halfii10custom_op1Lj256ELj1EEvPKT_PT1_
	.globl	_Z20subtract_left_kernelI6__halfii10custom_op1Lj256ELj1EEvPKT_PT1_
	.p2align	8
	.type	_Z20subtract_left_kernelI6__halfii10custom_op1Lj256ELj1EEvPKT_PT1_,@function
_Z20subtract_left_kernelI6__halfii10custom_op1Lj256ELj1EEvPKT_PT1_: ; @_Z20subtract_left_kernelI6__halfii10custom_op1Lj256ELj1EEvPKT_PT1_
; %bb.0:
	s_load_b128 s[0:3], s[0:1], 0x0
	s_bfe_u32 s4, ttmp6, 0x4000c
	s_and_b32 s5, ttmp6, 15
	s_add_co_i32 s4, s4, 1
	s_getreg_b32 s6, hwreg(HW_REG_IB_STS2, 6, 4)
	s_mul_i32 s4, ttmp9, s4
	v_lshlrev_b32_e32 v2, 1, v0
	s_add_co_i32 s5, s5, s4
	s_cmp_eq_u32 s6, 0
	v_cmp_ne_u32_e32 vcc_lo, 0, v0
	s_cselect_b32 s8, ttmp9, s5
	s_mov_b32 s5, 0
	s_lshl_b32 s4, s8, 8
	s_delay_alu instid0(SALU_CYCLE_1)
	s_lshl_b64 s[6:7], s[4:5], 1
	s_bitcmp0_b32 s8, 0
	s_wait_kmcnt 0x0
	s_add_nc_u64 s[6:7], s[0:1], s[6:7]
	global_load_u16 v1, v0, s[6:7] scale_offset
	s_cbranch_scc1 .LBB86_4
; %bb.1:
	s_wait_xcnt 0x0
	s_add_co_i32 s6, s4, -1
	s_wait_loadcnt 0x0
	ds_store_b16 v2, v1
	v_mov_b32_e32 v3, s6
	global_load_u16 v3, v3, s[0:1] scale_offset
	s_wait_loadcnt_dscnt 0x0
	s_barrier_signal -1
	s_barrier_wait -1
	s_and_saveexec_b32 s0, vcc_lo
; %bb.2:
	v_add_nc_u32_e32 v3, -2, v2
	ds_load_u16 v3, v3
; %bb.3:
	s_or_b32 exec_lo, exec_lo, s0
	s_wait_dscnt 0x0
	v_sub_f16_e32 v3, v1, v3
	s_branch .LBB86_8
.LBB86_4:
                                        ; implicit-def: $vgpr3
	s_cbranch_execz .LBB86_8
; %bb.5:
	s_mov_b32 s0, exec_lo
	s_wait_loadcnt 0x0
	ds_store_b16 v2, v1
	s_wait_dscnt 0x0
	s_barrier_signal -1
	s_barrier_wait -1
	v_cmpx_ne_u32_e32 0, v0
	s_cbranch_execz .LBB86_7
; %bb.6:
	v_add_nc_u32_e32 v2, -2, v2
	ds_load_u16 v2, v2
	s_wait_dscnt 0x0
	v_sub_f16_e32 v1, v1, v2
.LBB86_7:
	s_or_b32 exec_lo, exec_lo, s0
	s_delay_alu instid0(VALU_DEP_1)
	v_mov_b32_e32 v3, v1
.LBB86_8:
	s_wait_loadcnt 0x0
	s_delay_alu instid0(VALU_DEP_1) | instskip(SKIP_1) | instid1(SALU_CYCLE_1)
	v_cvt_f32_f16_e32 v1, v3
	s_lshl_b64 s[0:1], s[4:5], 2
	s_add_nc_u64 s[0:1], s[2:3], s[0:1]
	s_delay_alu instid0(VALU_DEP_1)
	v_cvt_i32_f32_e32 v1, v1
	global_store_b32 v0, v1, s[0:1] scale_offset
	s_endpgm
	.section	.rodata,"a",@progbits
	.p2align	6, 0x0
	.amdhsa_kernel _Z20subtract_left_kernelI6__halfii10custom_op1Lj256ELj1EEvPKT_PT1_
		.amdhsa_group_segment_fixed_size 1024
		.amdhsa_private_segment_fixed_size 0
		.amdhsa_kernarg_size 16
		.amdhsa_user_sgpr_count 2
		.amdhsa_user_sgpr_dispatch_ptr 0
		.amdhsa_user_sgpr_queue_ptr 0
		.amdhsa_user_sgpr_kernarg_segment_ptr 1
		.amdhsa_user_sgpr_dispatch_id 0
		.amdhsa_user_sgpr_kernarg_preload_length 0
		.amdhsa_user_sgpr_kernarg_preload_offset 0
		.amdhsa_user_sgpr_private_segment_size 0
		.amdhsa_wavefront_size32 1
		.amdhsa_uses_dynamic_stack 0
		.amdhsa_enable_private_segment 0
		.amdhsa_system_sgpr_workgroup_id_x 1
		.amdhsa_system_sgpr_workgroup_id_y 0
		.amdhsa_system_sgpr_workgroup_id_z 0
		.amdhsa_system_sgpr_workgroup_info 0
		.amdhsa_system_vgpr_workitem_id 0
		.amdhsa_next_free_vgpr 4
		.amdhsa_next_free_sgpr 9
		.amdhsa_named_barrier_count 0
		.amdhsa_reserve_vcc 1
		.amdhsa_float_round_mode_32 0
		.amdhsa_float_round_mode_16_64 0
		.amdhsa_float_denorm_mode_32 3
		.amdhsa_float_denorm_mode_16_64 3
		.amdhsa_fp16_overflow 0
		.amdhsa_memory_ordered 1
		.amdhsa_forward_progress 1
		.amdhsa_inst_pref_size 3
		.amdhsa_round_robin_scheduling 0
		.amdhsa_exception_fp_ieee_invalid_op 0
		.amdhsa_exception_fp_denorm_src 0
		.amdhsa_exception_fp_ieee_div_zero 0
		.amdhsa_exception_fp_ieee_overflow 0
		.amdhsa_exception_fp_ieee_underflow 0
		.amdhsa_exception_fp_ieee_inexact 0
		.amdhsa_exception_int_div_zero 0
	.end_amdhsa_kernel
	.section	.text._Z20subtract_left_kernelI6__halfii10custom_op1Lj256ELj1EEvPKT_PT1_,"axG",@progbits,_Z20subtract_left_kernelI6__halfii10custom_op1Lj256ELj1EEvPKT_PT1_,comdat
.Lfunc_end86:
	.size	_Z20subtract_left_kernelI6__halfii10custom_op1Lj256ELj1EEvPKT_PT1_, .Lfunc_end86-_Z20subtract_left_kernelI6__halfii10custom_op1Lj256ELj1EEvPKT_PT1_
                                        ; -- End function
	.set _Z20subtract_left_kernelI6__halfii10custom_op1Lj256ELj1EEvPKT_PT1_.num_vgpr, 4
	.set _Z20subtract_left_kernelI6__halfii10custom_op1Lj256ELj1EEvPKT_PT1_.num_agpr, 0
	.set _Z20subtract_left_kernelI6__halfii10custom_op1Lj256ELj1EEvPKT_PT1_.numbered_sgpr, 9
	.set _Z20subtract_left_kernelI6__halfii10custom_op1Lj256ELj1EEvPKT_PT1_.num_named_barrier, 0
	.set _Z20subtract_left_kernelI6__halfii10custom_op1Lj256ELj1EEvPKT_PT1_.private_seg_size, 0
	.set _Z20subtract_left_kernelI6__halfii10custom_op1Lj256ELj1EEvPKT_PT1_.uses_vcc, 1
	.set _Z20subtract_left_kernelI6__halfii10custom_op1Lj256ELj1EEvPKT_PT1_.uses_flat_scratch, 0
	.set _Z20subtract_left_kernelI6__halfii10custom_op1Lj256ELj1EEvPKT_PT1_.has_dyn_sized_stack, 0
	.set _Z20subtract_left_kernelI6__halfii10custom_op1Lj256ELj1EEvPKT_PT1_.has_recursion, 0
	.set _Z20subtract_left_kernelI6__halfii10custom_op1Lj256ELj1EEvPKT_PT1_.has_indirect_call, 0
	.section	.AMDGPU.csdata,"",@progbits
; Kernel info:
; codeLenInByte = 292
; TotalNumSgprs: 11
; NumVgprs: 4
; ScratchSize: 0
; MemoryBound: 0
; FloatMode: 240
; IeeeMode: 1
; LDSByteSize: 1024 bytes/workgroup (compile time only)
; SGPRBlocks: 0
; VGPRBlocks: 0
; NumSGPRsForWavesPerEU: 11
; NumVGPRsForWavesPerEU: 4
; NamedBarCnt: 0
; Occupancy: 16
; WaveLimiterHint : 0
; COMPUTE_PGM_RSRC2:SCRATCH_EN: 0
; COMPUTE_PGM_RSRC2:USER_SGPR: 2
; COMPUTE_PGM_RSRC2:TRAP_HANDLER: 0
; COMPUTE_PGM_RSRC2:TGID_X_EN: 1
; COMPUTE_PGM_RSRC2:TGID_Y_EN: 0
; COMPUTE_PGM_RSRC2:TGID_Z_EN: 0
; COMPUTE_PGM_RSRC2:TIDIG_COMP_CNT: 0
	.section	.text._Z20subtract_left_kernelIfii10custom_op2Lj256ELj1EEvPKT_PT1_,"axG",@progbits,_Z20subtract_left_kernelIfii10custom_op2Lj256ELj1EEvPKT_PT1_,comdat
	.protected	_Z20subtract_left_kernelIfii10custom_op2Lj256ELj1EEvPKT_PT1_ ; -- Begin function _Z20subtract_left_kernelIfii10custom_op2Lj256ELj1EEvPKT_PT1_
	.globl	_Z20subtract_left_kernelIfii10custom_op2Lj256ELj1EEvPKT_PT1_
	.p2align	8
	.type	_Z20subtract_left_kernelIfii10custom_op2Lj256ELj1EEvPKT_PT1_,@function
_Z20subtract_left_kernelIfii10custom_op2Lj256ELj1EEvPKT_PT1_: ; @_Z20subtract_left_kernelIfii10custom_op2Lj256ELj1EEvPKT_PT1_
; %bb.0:
	s_load_b128 s[0:3], s[0:1], 0x0
	s_bfe_u32 s4, ttmp6, 0x4000c
	s_and_b32 s5, ttmp6, 15
	s_add_co_i32 s4, s4, 1
	s_getreg_b32 s6, hwreg(HW_REG_IB_STS2, 6, 4)
	s_mul_i32 s4, ttmp9, s4
	s_mov_b32 s7, 0
	s_add_co_i32 s5, s5, s4
	s_cmp_eq_u32 s6, 0
	v_lshlrev_b32_e32 v2, 2, v0
	s_cselect_b32 s10, ttmp9, s5
	v_cmp_ne_u32_e32 vcc_lo, 0, v0
	s_lshl_b32 s6, s10, 8
	s_delay_alu instid0(SALU_CYCLE_1)
	s_lshl_b64 s[4:5], s[6:7], 2
	s_bitcmp0_b32 s10, 0
	s_wait_kmcnt 0x0
	s_add_nc_u64 s[8:9], s[0:1], s[4:5]
	global_load_b32 v1, v0, s[8:9] scale_offset
	s_cbranch_scc1 .LBB87_5
; %bb.1:
	s_add_co_i32 s6, s6, -1
	s_wait_loadcnt 0x0
	ds_store_b32 v2, v1
	s_load_b32 s0, s[0:1], s6 offset:0x0 scale_offset
	s_wait_dscnt 0x0
	s_barrier_signal -1
	s_barrier_wait -1
	s_wait_kmcnt 0x0
	v_mov_b32_e32 v3, s0
	s_and_saveexec_b32 s0, vcc_lo
; %bb.2:
	v_add_nc_u32_e32 v3, -4, v2
	ds_load_b32 v3, v3
; %bb.3:
	s_or_b32 exec_lo, exec_lo, s0
	s_wait_dscnt 0x0
	v_fma_f32 v3, v3, 2.0, -v1
.LBB87_4:
	s_wait_loadcnt 0x0
	s_delay_alu instid0(VALU_DEP_1)
	v_cvt_i32_f32_e32 v1, v3
	s_add_nc_u64 s[0:1], s[2:3], s[4:5]
	global_store_b32 v0, v1, s[0:1] scale_offset
	s_endpgm
.LBB87_5:
                                        ; implicit-def: $vgpr3
	s_cbranch_execz .LBB87_4
; %bb.6:
	s_mov_b32 s0, exec_lo
	s_wait_loadcnt 0x0
	ds_store_b32 v2, v1
	s_wait_dscnt 0x0
	s_barrier_signal -1
	s_barrier_wait -1
	v_cmpx_ne_u32_e32 0, v0
	s_cbranch_execz .LBB87_8
; %bb.7:
	v_add_nc_u32_e32 v2, -4, v2
	ds_load_b32 v2, v2
	s_wait_dscnt 0x0
	v_fma_f32 v1, v2, 2.0, -v1
.LBB87_8:
	s_or_b32 exec_lo, exec_lo, s0
	s_delay_alu instid0(VALU_DEP_1) | instskip(NEXT) | instid1(VALU_DEP_1)
	v_mov_b32_e32 v3, v1
	v_cvt_i32_f32_e32 v1, v3
	s_add_nc_u64 s[0:1], s[2:3], s[4:5]
	global_store_b32 v0, v1, s[0:1] scale_offset
	s_endpgm
	.section	.rodata,"a",@progbits
	.p2align	6, 0x0
	.amdhsa_kernel _Z20subtract_left_kernelIfii10custom_op2Lj256ELj1EEvPKT_PT1_
		.amdhsa_group_segment_fixed_size 2048
		.amdhsa_private_segment_fixed_size 0
		.amdhsa_kernarg_size 16
		.amdhsa_user_sgpr_count 2
		.amdhsa_user_sgpr_dispatch_ptr 0
		.amdhsa_user_sgpr_queue_ptr 0
		.amdhsa_user_sgpr_kernarg_segment_ptr 1
		.amdhsa_user_sgpr_dispatch_id 0
		.amdhsa_user_sgpr_kernarg_preload_length 0
		.amdhsa_user_sgpr_kernarg_preload_offset 0
		.amdhsa_user_sgpr_private_segment_size 0
		.amdhsa_wavefront_size32 1
		.amdhsa_uses_dynamic_stack 0
		.amdhsa_enable_private_segment 0
		.amdhsa_system_sgpr_workgroup_id_x 1
		.amdhsa_system_sgpr_workgroup_id_y 0
		.amdhsa_system_sgpr_workgroup_id_z 0
		.amdhsa_system_sgpr_workgroup_info 0
		.amdhsa_system_vgpr_workitem_id 0
		.amdhsa_next_free_vgpr 4
		.amdhsa_next_free_sgpr 11
		.amdhsa_named_barrier_count 0
		.amdhsa_reserve_vcc 1
		.amdhsa_float_round_mode_32 0
		.amdhsa_float_round_mode_16_64 0
		.amdhsa_float_denorm_mode_32 3
		.amdhsa_float_denorm_mode_16_64 3
		.amdhsa_fp16_overflow 0
		.amdhsa_memory_ordered 1
		.amdhsa_forward_progress 1
		.amdhsa_inst_pref_size 3
		.amdhsa_round_robin_scheduling 0
		.amdhsa_exception_fp_ieee_invalid_op 0
		.amdhsa_exception_fp_denorm_src 0
		.amdhsa_exception_fp_ieee_div_zero 0
		.amdhsa_exception_fp_ieee_overflow 0
		.amdhsa_exception_fp_ieee_underflow 0
		.amdhsa_exception_fp_ieee_inexact 0
		.amdhsa_exception_int_div_zero 0
	.end_amdhsa_kernel
	.section	.text._Z20subtract_left_kernelIfii10custom_op2Lj256ELj1EEvPKT_PT1_,"axG",@progbits,_Z20subtract_left_kernelIfii10custom_op2Lj256ELj1EEvPKT_PT1_,comdat
.Lfunc_end87:
	.size	_Z20subtract_left_kernelIfii10custom_op2Lj256ELj1EEvPKT_PT1_, .Lfunc_end87-_Z20subtract_left_kernelIfii10custom_op2Lj256ELj1EEvPKT_PT1_
                                        ; -- End function
	.set _Z20subtract_left_kernelIfii10custom_op2Lj256ELj1EEvPKT_PT1_.num_vgpr, 4
	.set _Z20subtract_left_kernelIfii10custom_op2Lj256ELj1EEvPKT_PT1_.num_agpr, 0
	.set _Z20subtract_left_kernelIfii10custom_op2Lj256ELj1EEvPKT_PT1_.numbered_sgpr, 11
	.set _Z20subtract_left_kernelIfii10custom_op2Lj256ELj1EEvPKT_PT1_.num_named_barrier, 0
	.set _Z20subtract_left_kernelIfii10custom_op2Lj256ELj1EEvPKT_PT1_.private_seg_size, 0
	.set _Z20subtract_left_kernelIfii10custom_op2Lj256ELj1EEvPKT_PT1_.uses_vcc, 1
	.set _Z20subtract_left_kernelIfii10custom_op2Lj256ELj1EEvPKT_PT1_.uses_flat_scratch, 0
	.set _Z20subtract_left_kernelIfii10custom_op2Lj256ELj1EEvPKT_PT1_.has_dyn_sized_stack, 0
	.set _Z20subtract_left_kernelIfii10custom_op2Lj256ELj1EEvPKT_PT1_.has_recursion, 0
	.set _Z20subtract_left_kernelIfii10custom_op2Lj256ELj1EEvPKT_PT1_.has_indirect_call, 0
	.section	.AMDGPU.csdata,"",@progbits
; Kernel info:
; codeLenInByte = 304
; TotalNumSgprs: 13
; NumVgprs: 4
; ScratchSize: 0
; MemoryBound: 0
; FloatMode: 240
; IeeeMode: 1
; LDSByteSize: 2048 bytes/workgroup (compile time only)
; SGPRBlocks: 0
; VGPRBlocks: 0
; NumSGPRsForWavesPerEU: 13
; NumVGPRsForWavesPerEU: 4
; NamedBarCnt: 0
; Occupancy: 16
; WaveLimiterHint : 0
; COMPUTE_PGM_RSRC2:SCRATCH_EN: 0
; COMPUTE_PGM_RSRC2:USER_SGPR: 2
; COMPUTE_PGM_RSRC2:TRAP_HANDLER: 0
; COMPUTE_PGM_RSRC2:TGID_X_EN: 1
; COMPUTE_PGM_RSRC2:TGID_Y_EN: 0
; COMPUTE_PGM_RSRC2:TGID_Z_EN: 0
; COMPUTE_PGM_RSRC2:TIDIG_COMP_CNT: 0
	.section	.text._Z20subtract_left_kernelIibi10custom_op1Lj128ELj1EEvPKT_PT1_,"axG",@progbits,_Z20subtract_left_kernelIibi10custom_op1Lj128ELj1EEvPKT_PT1_,comdat
	.protected	_Z20subtract_left_kernelIibi10custom_op1Lj128ELj1EEvPKT_PT1_ ; -- Begin function _Z20subtract_left_kernelIibi10custom_op1Lj128ELj1EEvPKT_PT1_
	.globl	_Z20subtract_left_kernelIibi10custom_op1Lj128ELj1EEvPKT_PT1_
	.p2align	8
	.type	_Z20subtract_left_kernelIibi10custom_op1Lj128ELj1EEvPKT_PT1_,@function
_Z20subtract_left_kernelIibi10custom_op1Lj128ELj1EEvPKT_PT1_: ; @_Z20subtract_left_kernelIibi10custom_op1Lj128ELj1EEvPKT_PT1_
; %bb.0:
	s_load_b128 s[0:3], s[0:1], 0x0
	s_bfe_u32 s4, ttmp6, 0x4000c
	s_and_b32 s5, ttmp6, 15
	s_add_co_i32 s4, s4, 1
	s_getreg_b32 s6, hwreg(HW_REG_IB_STS2, 6, 4)
	s_mul_i32 s4, ttmp9, s4
	s_mov_b32 s7, 0
	s_add_co_i32 s5, s5, s4
	s_cmp_eq_u32 s6, 0
	v_lshlrev_b32_e32 v2, 2, v0
	s_cselect_b32 s10, ttmp9, s5
	v_cmp_ne_u32_e32 vcc_lo, 0, v0
	s_lshl_b32 s6, s10, 7
	s_delay_alu instid0(SALU_CYCLE_1)
	s_lshl_b64 s[4:5], s[6:7], 2
	s_bitcmp0_b32 s10, 0
	s_wait_kmcnt 0x0
	s_add_nc_u64 s[8:9], s[0:1], s[4:5]
	global_load_b32 v1, v0, s[8:9] scale_offset
	s_cbranch_scc1 .LBB88_2
; %bb.1:
	s_add_co_i32 s6, s6, -1
	s_and_b32 s7, vcc_lo, exec_lo
	s_load_b32 s0, s[0:1], s6 offset:0x0 scale_offset
	s_wait_xcnt 0x0
	s_wait_loadcnt 0x0
	ds_store_b32 v2, v1
	s_wait_dscnt 0x0
	s_barrier_signal -1
	s_barrier_wait -1
	s_cbranch_execz .LBB88_3
	s_branch .LBB88_4
.LBB88_2:
                                        ; implicit-def: $sgpr0
.LBB88_3:
	v_cmp_ne_u32_e32 vcc_lo, 0, v0
	s_and_not1_b32 s1, s7, exec_lo
	s_wait_kmcnt 0x0
	s_mov_b32 s0, 0
	s_wait_loadcnt 0x0
	ds_store_b32 v2, v1
	s_wait_dscnt 0x0
	s_and_b32 s6, vcc_lo, exec_lo
	s_barrier_signal -1
	s_or_b32 s7, s1, s6
	s_barrier_wait -1
.LBB88_4:
	s_wait_kmcnt 0x0
	v_mov_b32_e32 v2, s0
	s_wait_xcnt 0x0
	s_and_saveexec_b32 s0, s7
; %bb.5:
	v_lshl_add_u32 v2, v0, 2, -4
	ds_load_b32 v2, v2
; %bb.6:
	s_or_b32 exec_lo, exec_lo, s0
	s_wait_loadcnt_dscnt 0x0
	v_cmp_ne_u32_e32 vcc_lo, v1, v2
	s_add_nc_u64 s[0:1], s[2:3], s[4:5]
	v_cndmask_b32_e64 v1, 0, 1, vcc_lo
	global_store_b32 v0, v1, s[0:1] scale_offset
	s_endpgm
	.section	.rodata,"a",@progbits
	.p2align	6, 0x0
	.amdhsa_kernel _Z20subtract_left_kernelIibi10custom_op1Lj128ELj1EEvPKT_PT1_
		.amdhsa_group_segment_fixed_size 1024
		.amdhsa_private_segment_fixed_size 0
		.amdhsa_kernarg_size 16
		.amdhsa_user_sgpr_count 2
		.amdhsa_user_sgpr_dispatch_ptr 0
		.amdhsa_user_sgpr_queue_ptr 0
		.amdhsa_user_sgpr_kernarg_segment_ptr 1
		.amdhsa_user_sgpr_dispatch_id 0
		.amdhsa_user_sgpr_kernarg_preload_length 0
		.amdhsa_user_sgpr_kernarg_preload_offset 0
		.amdhsa_user_sgpr_private_segment_size 0
		.amdhsa_wavefront_size32 1
		.amdhsa_uses_dynamic_stack 0
		.amdhsa_enable_private_segment 0
		.amdhsa_system_sgpr_workgroup_id_x 1
		.amdhsa_system_sgpr_workgroup_id_y 0
		.amdhsa_system_sgpr_workgroup_id_z 0
		.amdhsa_system_sgpr_workgroup_info 0
		.amdhsa_system_vgpr_workitem_id 0
		.amdhsa_next_free_vgpr 3
		.amdhsa_next_free_sgpr 11
		.amdhsa_named_barrier_count 0
		.amdhsa_reserve_vcc 1
		.amdhsa_float_round_mode_32 0
		.amdhsa_float_round_mode_16_64 0
		.amdhsa_float_denorm_mode_32 3
		.amdhsa_float_denorm_mode_16_64 3
		.amdhsa_fp16_overflow 0
		.amdhsa_memory_ordered 1
		.amdhsa_forward_progress 1
		.amdhsa_inst_pref_size 3
		.amdhsa_round_robin_scheduling 0
		.amdhsa_exception_fp_ieee_invalid_op 0
		.amdhsa_exception_fp_denorm_src 0
		.amdhsa_exception_fp_ieee_div_zero 0
		.amdhsa_exception_fp_ieee_overflow 0
		.amdhsa_exception_fp_ieee_underflow 0
		.amdhsa_exception_fp_ieee_inexact 0
		.amdhsa_exception_int_div_zero 0
	.end_amdhsa_kernel
	.section	.text._Z20subtract_left_kernelIibi10custom_op1Lj128ELj1EEvPKT_PT1_,"axG",@progbits,_Z20subtract_left_kernelIibi10custom_op1Lj128ELj1EEvPKT_PT1_,comdat
.Lfunc_end88:
	.size	_Z20subtract_left_kernelIibi10custom_op1Lj128ELj1EEvPKT_PT1_, .Lfunc_end88-_Z20subtract_left_kernelIibi10custom_op1Lj128ELj1EEvPKT_PT1_
                                        ; -- End function
	.set _Z20subtract_left_kernelIibi10custom_op1Lj128ELj1EEvPKT_PT1_.num_vgpr, 3
	.set _Z20subtract_left_kernelIibi10custom_op1Lj128ELj1EEvPKT_PT1_.num_agpr, 0
	.set _Z20subtract_left_kernelIibi10custom_op1Lj128ELj1EEvPKT_PT1_.numbered_sgpr, 11
	.set _Z20subtract_left_kernelIibi10custom_op1Lj128ELj1EEvPKT_PT1_.num_named_barrier, 0
	.set _Z20subtract_left_kernelIibi10custom_op1Lj128ELj1EEvPKT_PT1_.private_seg_size, 0
	.set _Z20subtract_left_kernelIibi10custom_op1Lj128ELj1EEvPKT_PT1_.uses_vcc, 1
	.set _Z20subtract_left_kernelIibi10custom_op1Lj128ELj1EEvPKT_PT1_.uses_flat_scratch, 0
	.set _Z20subtract_left_kernelIibi10custom_op1Lj128ELj1EEvPKT_PT1_.has_dyn_sized_stack, 0
	.set _Z20subtract_left_kernelIibi10custom_op1Lj128ELj1EEvPKT_PT1_.has_recursion, 0
	.set _Z20subtract_left_kernelIibi10custom_op1Lj128ELj1EEvPKT_PT1_.has_indirect_call, 0
	.section	.AMDGPU.csdata,"",@progbits
; Kernel info:
; codeLenInByte = 268
; TotalNumSgprs: 13
; NumVgprs: 3
; ScratchSize: 0
; MemoryBound: 0
; FloatMode: 240
; IeeeMode: 1
; LDSByteSize: 1024 bytes/workgroup (compile time only)
; SGPRBlocks: 0
; VGPRBlocks: 0
; NumSGPRsForWavesPerEU: 13
; NumVGPRsForWavesPerEU: 3
; NamedBarCnt: 0
; Occupancy: 16
; WaveLimiterHint : 0
; COMPUTE_PGM_RSRC2:SCRATCH_EN: 0
; COMPUTE_PGM_RSRC2:USER_SGPR: 2
; COMPUTE_PGM_RSRC2:TRAP_HANDLER: 0
; COMPUTE_PGM_RSRC2:TGID_X_EN: 1
; COMPUTE_PGM_RSRC2:TGID_Y_EN: 0
; COMPUTE_PGM_RSRC2:TGID_Z_EN: 0
; COMPUTE_PGM_RSRC2:TIDIG_COMP_CNT: 0
	.section	.text._Z20subtract_left_kernelIjiiN6hipcub3SumELj64ELj1EEvPKT_PT1_,"axG",@progbits,_Z20subtract_left_kernelIjiiN6hipcub3SumELj64ELj1EEvPKT_PT1_,comdat
	.protected	_Z20subtract_left_kernelIjiiN6hipcub3SumELj64ELj1EEvPKT_PT1_ ; -- Begin function _Z20subtract_left_kernelIjiiN6hipcub3SumELj64ELj1EEvPKT_PT1_
	.globl	_Z20subtract_left_kernelIjiiN6hipcub3SumELj64ELj1EEvPKT_PT1_
	.p2align	8
	.type	_Z20subtract_left_kernelIjiiN6hipcub3SumELj64ELj1EEvPKT_PT1_,@function
_Z20subtract_left_kernelIjiiN6hipcub3SumELj64ELj1EEvPKT_PT1_: ; @_Z20subtract_left_kernelIjiiN6hipcub3SumELj64ELj1EEvPKT_PT1_
; %bb.0:
	s_load_b128 s[0:3], s[0:1], 0x0
	s_bfe_u32 s4, ttmp6, 0x4000c
	s_and_b32 s5, ttmp6, 15
	s_add_co_i32 s4, s4, 1
	s_getreg_b32 s6, hwreg(HW_REG_IB_STS2, 6, 4)
	s_mul_i32 s4, ttmp9, s4
	s_mov_b32 s7, 0
	s_add_co_i32 s5, s5, s4
	s_cmp_eq_u32 s6, 0
	v_lshlrev_b32_e32 v2, 2, v0
	s_cselect_b32 s10, ttmp9, s5
	v_cmp_ne_u32_e32 vcc_lo, 0, v0
	s_lshl_b32 s6, s10, 6
	s_delay_alu instid0(SALU_CYCLE_1)
	s_lshl_b64 s[4:5], s[6:7], 2
	s_bitcmp0_b32 s10, 0
	s_wait_kmcnt 0x0
	s_add_nc_u64 s[8:9], s[0:1], s[4:5]
	global_load_b32 v1, v0, s[8:9] scale_offset
	s_cbranch_scc1 .LBB89_5
; %bb.1:
	s_add_co_i32 s6, s6, -1
	s_wait_loadcnt 0x0
	ds_store_b32 v2, v1
	s_load_b32 s0, s[0:1], s6 offset:0x0 scale_offset
	s_wait_dscnt 0x0
	s_barrier_signal -1
	s_barrier_wait -1
	s_wait_kmcnt 0x0
	v_mov_b32_e32 v3, s0
	s_and_saveexec_b32 s0, vcc_lo
; %bb.2:
	v_add_nc_u32_e32 v3, -4, v2
	ds_load_b32 v3, v3
; %bb.3:
	s_or_b32 exec_lo, exec_lo, s0
	s_wait_dscnt 0x0
	v_add_nc_u32_e32 v3, v3, v1
.LBB89_4:
	s_add_nc_u64 s[0:1], s[2:3], s[4:5]
	global_store_b32 v0, v3, s[0:1] scale_offset
	s_endpgm
.LBB89_5:
                                        ; implicit-def: $vgpr3
	s_cbranch_execz .LBB89_4
; %bb.6:
	s_mov_b32 s0, exec_lo
	s_wait_loadcnt 0x0
	ds_store_b32 v2, v1
	s_wait_dscnt 0x0
	s_barrier_signal -1
	s_barrier_wait -1
	v_cmpx_ne_u32_e32 0, v0
	s_cbranch_execz .LBB89_8
; %bb.7:
	v_add_nc_u32_e32 v2, -4, v2
	ds_load_b32 v2, v2
	s_wait_dscnt 0x0
	v_add_nc_u32_e32 v1, v2, v1
.LBB89_8:
	s_or_b32 exec_lo, exec_lo, s0
	s_delay_alu instid0(VALU_DEP_1)
	v_mov_b32_e32 v3, v1
	s_add_nc_u64 s[0:1], s[2:3], s[4:5]
	global_store_b32 v0, v3, s[0:1] scale_offset
	s_endpgm
	.section	.rodata,"a",@progbits
	.p2align	6, 0x0
	.amdhsa_kernel _Z20subtract_left_kernelIjiiN6hipcub3SumELj64ELj1EEvPKT_PT1_
		.amdhsa_group_segment_fixed_size 512
		.amdhsa_private_segment_fixed_size 0
		.amdhsa_kernarg_size 16
		.amdhsa_user_sgpr_count 2
		.amdhsa_user_sgpr_dispatch_ptr 0
		.amdhsa_user_sgpr_queue_ptr 0
		.amdhsa_user_sgpr_kernarg_segment_ptr 1
		.amdhsa_user_sgpr_dispatch_id 0
		.amdhsa_user_sgpr_kernarg_preload_length 0
		.amdhsa_user_sgpr_kernarg_preload_offset 0
		.amdhsa_user_sgpr_private_segment_size 0
		.amdhsa_wavefront_size32 1
		.amdhsa_uses_dynamic_stack 0
		.amdhsa_enable_private_segment 0
		.amdhsa_system_sgpr_workgroup_id_x 1
		.amdhsa_system_sgpr_workgroup_id_y 0
		.amdhsa_system_sgpr_workgroup_id_z 0
		.amdhsa_system_sgpr_workgroup_info 0
		.amdhsa_system_vgpr_workitem_id 0
		.amdhsa_next_free_vgpr 4
		.amdhsa_next_free_sgpr 11
		.amdhsa_named_barrier_count 0
		.amdhsa_reserve_vcc 1
		.amdhsa_float_round_mode_32 0
		.amdhsa_float_round_mode_16_64 0
		.amdhsa_float_denorm_mode_32 3
		.amdhsa_float_denorm_mode_16_64 3
		.amdhsa_fp16_overflow 0
		.amdhsa_memory_ordered 1
		.amdhsa_forward_progress 1
		.amdhsa_inst_pref_size 3
		.amdhsa_round_robin_scheduling 0
		.amdhsa_exception_fp_ieee_invalid_op 0
		.amdhsa_exception_fp_denorm_src 0
		.amdhsa_exception_fp_ieee_div_zero 0
		.amdhsa_exception_fp_ieee_overflow 0
		.amdhsa_exception_fp_ieee_underflow 0
		.amdhsa_exception_fp_ieee_inexact 0
		.amdhsa_exception_int_div_zero 0
	.end_amdhsa_kernel
	.section	.text._Z20subtract_left_kernelIjiiN6hipcub3SumELj64ELj1EEvPKT_PT1_,"axG",@progbits,_Z20subtract_left_kernelIjiiN6hipcub3SumELj64ELj1EEvPKT_PT1_,comdat
.Lfunc_end89:
	.size	_Z20subtract_left_kernelIjiiN6hipcub3SumELj64ELj1EEvPKT_PT1_, .Lfunc_end89-_Z20subtract_left_kernelIjiiN6hipcub3SumELj64ELj1EEvPKT_PT1_
                                        ; -- End function
	.set _Z20subtract_left_kernelIjiiN6hipcub3SumELj64ELj1EEvPKT_PT1_.num_vgpr, 4
	.set _Z20subtract_left_kernelIjiiN6hipcub3SumELj64ELj1EEvPKT_PT1_.num_agpr, 0
	.set _Z20subtract_left_kernelIjiiN6hipcub3SumELj64ELj1EEvPKT_PT1_.numbered_sgpr, 11
	.set _Z20subtract_left_kernelIjiiN6hipcub3SumELj64ELj1EEvPKT_PT1_.num_named_barrier, 0
	.set _Z20subtract_left_kernelIjiiN6hipcub3SumELj64ELj1EEvPKT_PT1_.private_seg_size, 0
	.set _Z20subtract_left_kernelIjiiN6hipcub3SumELj64ELj1EEvPKT_PT1_.uses_vcc, 1
	.set _Z20subtract_left_kernelIjiiN6hipcub3SumELj64ELj1EEvPKT_PT1_.uses_flat_scratch, 0
	.set _Z20subtract_left_kernelIjiiN6hipcub3SumELj64ELj1EEvPKT_PT1_.has_dyn_sized_stack, 0
	.set _Z20subtract_left_kernelIjiiN6hipcub3SumELj64ELj1EEvPKT_PT1_.has_recursion, 0
	.set _Z20subtract_left_kernelIjiiN6hipcub3SumELj64ELj1EEvPKT_PT1_.has_indirect_call, 0
	.section	.AMDGPU.csdata,"",@progbits
; Kernel info:
; codeLenInByte = 280
; TotalNumSgprs: 13
; NumVgprs: 4
; ScratchSize: 0
; MemoryBound: 0
; FloatMode: 240
; IeeeMode: 1
; LDSByteSize: 512 bytes/workgroup (compile time only)
; SGPRBlocks: 0
; VGPRBlocks: 0
; NumSGPRsForWavesPerEU: 13
; NumVGPRsForWavesPerEU: 4
; NamedBarCnt: 0
; Occupancy: 16
; WaveLimiterHint : 0
; COMPUTE_PGM_RSRC2:SCRATCH_EN: 0
; COMPUTE_PGM_RSRC2:USER_SGPR: 2
; COMPUTE_PGM_RSRC2:TRAP_HANDLER: 0
; COMPUTE_PGM_RSRC2:TGID_X_EN: 1
; COMPUTE_PGM_RSRC2:TGID_Y_EN: 0
; COMPUTE_PGM_RSRC2:TGID_Z_EN: 0
; COMPUTE_PGM_RSRC2:TIDIG_COMP_CNT: 0
	.section	.text._Z33subtract_left_partial_tile_kernelIsbi10custom_op2Lj234ELj9EEvPKT_PiPT1_,"axG",@progbits,_Z33subtract_left_partial_tile_kernelIsbi10custom_op2Lj234ELj9EEvPKT_PiPT1_,comdat
	.protected	_Z33subtract_left_partial_tile_kernelIsbi10custom_op2Lj234ELj9EEvPKT_PiPT1_ ; -- Begin function _Z33subtract_left_partial_tile_kernelIsbi10custom_op2Lj234ELj9EEvPKT_PiPT1_
	.globl	_Z33subtract_left_partial_tile_kernelIsbi10custom_op2Lj234ELj9EEvPKT_PiPT1_
	.p2align	8
	.type	_Z33subtract_left_partial_tile_kernelIsbi10custom_op2Lj234ELj9EEvPKT_PiPT1_,@function
_Z33subtract_left_partial_tile_kernelIsbi10custom_op2Lj234ELj9EEvPKT_PiPT1_: ; @_Z33subtract_left_partial_tile_kernelIsbi10custom_op2Lj234ELj9EEvPKT_PiPT1_
; %bb.0:
	s_load_b128 s[4:7], s[0:1], 0x0
	s_bfe_u32 s2, ttmp6, 0x4000c
	s_and_b32 s3, ttmp6, 15
	s_add_co_i32 s2, s2, 1
	s_getreg_b32 s8, hwreg(HW_REG_IB_STS2, 6, 4)
	s_mul_i32 s2, ttmp9, s2
	v_mul_u32_u24_e32 v10, 9, v0
	s_add_co_i32 s3, s3, s2
	s_cmp_eq_u32 s8, 0
	s_mov_b32 s9, 0
	s_cselect_b32 s12, ttmp9, s3
	v_lshlrev_b32_e32 v1, 1, v10
	s_mul_i32 s8, s12, 0x83a
	s_load_b64 s[2:3], s[0:1], 0x10
	s_lshl_b64 s[10:11], s[8:9], 1
	s_bitcmp0_b32 s12, 0
	v_cmp_ne_u32_e32 vcc_lo, 0, v0
	s_wait_kmcnt 0x0
	s_add_nc_u64 s[0:1], s[4:5], s[10:11]
	s_clause 0x1
	global_load_b128 v[2:5], v1, s[0:1]
	global_load_u16 v9, v10, s[0:1] offset:16 scale_offset
	s_wait_xcnt 0x0
	s_load_b32 s0, s[6:7], s12 offset:0x0 scale_offset
	s_wait_loadcnt 0x1
	v_dual_lshlrev_b32 v1, 1, v0 :: v_dual_lshrrev_b32 v11, 16, v2
	v_dual_lshrrev_b32 v12, 16, v3 :: v_dual_lshrrev_b32 v13, 16, v4
	v_lshrrev_b32_e32 v14, 16, v5
	s_cbranch_scc1 .LBB90_4
; %bb.1:
	s_add_co_i32 s1, s8, -1
	s_wait_loadcnt 0x0
	ds_store_b16 v1, v9
	v_mov_b32_e32 v6, s1
	global_load_u16 v6, v6, s[4:5] scale_offset
	s_wait_loadcnt_dscnt 0x0
	s_barrier_signal -1
	s_barrier_wait -1
	s_and_saveexec_b32 s1, vcc_lo
; %bb.2:
	v_add_nc_u32_e32 v6, -2, v1
	ds_load_u16 v6, v6
; %bb.3:
	s_or_b32 exec_lo, exec_lo, s1
	v_lshlrev_b16 v7, 1, v5
	v_cmp_ne_u16_e32 vcc_lo, 0, v14
	v_lshlrev_b16 v16, 1, v13
	v_lshlrev_b16 v18, 1, v4
	;; [unrolled: 1-line block ×4, first 2 shown]
	v_cndmask_b32_e64 v15, 0, 1, vcc_lo
	v_cmp_ne_u16_e32 vcc_lo, v7, v14
	s_wait_dscnt 0x0
	v_lshlrev_b16 v6, 1, v6
	v_lshlrev_b16 v19, 1, v14
	v_add_nc_u32_e32 v22, 3, v10
	v_cndmask_b32_e64 v7, 0, 1, vcc_lo
	v_dual_add_nc_u32 v8, 7, v10 :: v_dual_add_nc_u32 v25, 1, v10
	s_wait_kmcnt 0x0
	s_delay_alu instid0(VALU_DEP_1) | instskip(NEXT) | instid1(VALU_DEP_3)
	v_cmp_gt_u32_e32 vcc_lo, s0, v8
	v_cndmask_b32_e32 v7, v15, v7, vcc_lo
	v_cmp_ne_u16_e32 vcc_lo, v16, v5
	s_delay_alu instid0(VALU_DEP_2) | instskip(SKIP_2) | instid1(VALU_DEP_2)
	v_dual_add_nc_u32 v16, 8, v10 :: v_dual_lshlrev_b32 v7, 8, v7
	v_cndmask_b32_e64 v8, 0, 1, vcc_lo
	v_cmp_ne_u16_e32 vcc_lo, 0, v5
	v_dual_add_nc_u32 v17, 6, v10 :: v_dual_bitop2_b32 v8, v8, v7 bitop3:0x54
	v_cndmask_b32_e64 v15, 0, 1, vcc_lo
	v_cmp_ne_u16_e32 vcc_lo, 0, v13
	s_delay_alu instid0(VALU_DEP_2) | instskip(SKIP_2) | instid1(VALU_DEP_3)
	v_dual_lshlrev_b32 v8, 16, v8 :: v_dual_bitop2_b32 v7, v15, v7 bitop3:0x54
	v_cndmask_b32_e64 v15, 0, 1, vcc_lo
	v_cmp_ne_u16_e32 vcc_lo, v18, v13
	v_lshlrev_b32_e32 v7, 16, v7
	s_delay_alu instid0(VALU_DEP_3) | instskip(SKIP_3) | instid1(VALU_DEP_3)
	v_lshlrev_b16 v15, 8, v15
	v_cndmask_b32_e64 v18, 0, 1, vcc_lo
	v_cmp_gt_u32_e32 vcc_lo, s0, v17
	v_add_nc_u32_e32 v17, 5, v10
	v_lshlrev_b16 v18, 8, v18
	v_cndmask_b32_e32 v7, v7, v8, vcc_lo
	v_cmp_ne_u16_e32 vcc_lo, 0, v9
	s_delay_alu instid0(VALU_DEP_2) | instskip(SKIP_3) | instid1(VALU_DEP_4)
	v_bitop3_b16 v15, v7, v15, 0xff bitop3:0xec
	v_cndmask_b32_e64 v8, 0, 1, vcc_lo
	v_cmp_ne_u16_e32 vcc_lo, 0, v12
	v_bitop3_b16 v18, v7, v18, 0xff bitop3:0xec
	v_and_b32_e32 v15, 0xffff, v15
	v_cndmask_b32_e64 v21, 0, 1, vcc_lo
	v_cmp_ne_u16_e32 vcc_lo, v20, v12
	s_delay_alu instid0(VALU_DEP_4) | instskip(NEXT) | instid1(VALU_DEP_3)
	v_and_b32_e32 v18, 0xffff, v18
	v_lshlrev_b16 v21, 8, v21
	v_cndmask_b32_e64 v20, 0, 1, vcc_lo
	v_cmp_gt_u32_e32 vcc_lo, s0, v17
	v_lshlrev_b16 v17, 1, v12
	s_delay_alu instid0(VALU_DEP_3) | instskip(SKIP_3) | instid1(VALU_DEP_4)
	v_lshlrev_b16 v20, 8, v20
	v_cndmask_b32_e32 v15, v15, v18, vcc_lo
	v_cmp_gt_u32_e32 vcc_lo, s0, v22
	v_lshlrev_b16 v22, 1, v2
	v_cndmask_b32_e32 v18, v21, v20, vcc_lo
	v_cmp_ne_u16_e32 vcc_lo, v23, v3
	v_cndmask_b32_e64 v20, 0, 1, vcc_lo
	v_cmp_ne_u16_e32 vcc_lo, v17, v4
	s_delay_alu instid0(VALU_DEP_2) | instskip(SKIP_2) | instid1(VALU_DEP_2)
	v_or_b32_e32 v20, v20, v18
	v_cndmask_b32_e64 v17, 0, 1, vcc_lo
	v_cmp_ne_u16_e32 vcc_lo, 0, v4
	v_bitop3_b16 v17, v17, v15, 0x100 bitop3:0xf8
	v_cndmask_b32_e64 v21, 0, 1, vcc_lo
	v_cmp_ne_u16_e32 vcc_lo, 0, v3
	s_delay_alu instid0(VALU_DEP_3) | instskip(NEXT) | instid1(VALU_DEP_3)
	v_and_b32_e32 v17, 0xffff, v17
	v_bitop3_b16 v15, v21, v15, 0x100 bitop3:0xf8
	v_cndmask_b32_e64 v23, 0, 1, vcc_lo
	v_cmp_ne_u16_e32 vcc_lo, 0, v11
	s_delay_alu instid0(VALU_DEP_3) | instskip(NEXT) | instid1(VALU_DEP_3)
	v_and_b32_e32 v15, 0xffff, v15
	v_or_b32_e32 v18, v23, v18
	v_cndmask_b32_e64 v24, 0, 1, vcc_lo
	v_cmp_ne_u16_e32 vcc_lo, v22, v11
	v_add_nc_u32_e32 v23, 2, v10
	s_delay_alu instid0(VALU_DEP_3) | instskip(SKIP_1) | instid1(VALU_DEP_3)
	v_lshlrev_b16 v24, 8, v24
	v_cndmask_b32_e64 v22, 0, 1, vcc_lo
	v_cmp_gt_u32_e32 vcc_lo, s0, v23
	s_delay_alu instid0(VALU_DEP_2) | instskip(SKIP_2) | instid1(VALU_DEP_3)
	v_lshlrev_b16 v22, 8, v22
	v_cndmask_b32_e32 v18, v18, v20, vcc_lo
	v_cmp_gt_u32_e32 vcc_lo, s0, v25
	v_cndmask_b32_e32 v20, v24, v22, vcc_lo
	v_cmp_gt_u32_e32 vcc_lo, s0, v10
	s_delay_alu instid0(VALU_DEP_2) | instskip(SKIP_1) | instid1(VALU_DEP_2)
	v_dual_lshrrev_b32 v22, 8, v18 :: v_dual_lshrrev_b32 v20, 8, v20
	v_cndmask_b32_e32 v6, 0, v6, vcc_lo
	v_lshlrev_b16 v21, 8, v22
	s_delay_alu instid0(VALU_DEP_3) | instskip(NEXT) | instid1(VALU_DEP_3)
	v_lshlrev_b16 v20, 8, v20
	v_cmp_ne_u16_e32 vcc_lo, v2, v6
	s_delay_alu instid0(VALU_DEP_3) | instskip(SKIP_3) | instid1(VALU_DEP_3)
	v_bitop3_b16 v18, v18, v21, 1 bitop3:0xec
	v_cndmask_b32_e64 v6, 0, 1, vcc_lo
	v_add_nc_u32_e32 v22, 4, v10
	v_cmp_ne_u16_e32 vcc_lo, v19, v9
	v_or_b32_e32 v6, v6, v20
	v_cndmask_b32_e64 v19, 0, 1, vcc_lo
	s_delay_alu instid0(VALU_DEP_4) | instskip(NEXT) | instid1(VALU_DEP_3)
	v_cmp_gt_u32_e32 vcc_lo, s0, v22
	v_and_b32_e32 v6, 0xffff, v6
	v_cndmask_b32_e32 v15, v15, v17, vcc_lo
	v_cmp_gt_u32_e32 vcc_lo, s0, v16
	v_lshlrev_b32_e32 v17, 16, v18
	s_delay_alu instid0(VALU_DEP_3) | instskip(NEXT) | instid1(VALU_DEP_2)
	v_and_or_b32 v7, 0xffff0000, v7, v15
	v_dual_cndmask_b32 v8, v8, v19, vcc_lo :: v_dual_bitop2_b32 v6, v6, v17 bitop3:0x54
	s_branch .LBB90_8
.LBB90_4:
                                        ; implicit-def: $vgpr6_vgpr7_vgpr8
	s_cbranch_execz .LBB90_8
; %bb.5:
	v_lshlrev_b16 v6, 1, v5
	s_delay_alu instid0(VALU_DEP_2)
	v_cmp_ne_u16_e32 vcc_lo, 0, v14
	v_add_nc_u32_e32 v7, 7, v10
	v_lshlrev_b16 v15, 1, v13
	v_lshlrev_b16 v19, 1, v11
	s_wait_loadcnt 0x0
	ds_store_b16 v1, v9
	v_cndmask_b32_e64 v8, 0, 1, vcc_lo
	v_cmp_ne_u16_e32 vcc_lo, v6, v14
	v_lshlrev_b16 v14, 1, v14
	s_wait_dscnt 0x0
	s_barrier_signal -1
	s_barrier_wait -1
	v_cndmask_b32_e64 v6, 0, 1, vcc_lo
	s_wait_kmcnt 0x0
	v_cmp_gt_u32_e32 vcc_lo, s0, v7
	v_add_nc_u32_e32 v18, 3, v10
	s_delay_alu instid0(VALU_DEP_3) | instskip(SKIP_3) | instid1(VALU_DEP_4)
	v_cndmask_b32_e32 v6, v8, v6, vcc_lo
	v_cmp_ne_u16_e32 vcc_lo, v15, v5
	v_lshlrev_b16 v15, 1, v4
	v_add_nc_u32_e32 v8, 8, v10
	v_lshlrev_b32_e32 v6, 8, v6
	v_cndmask_b32_e64 v7, 0, 1, vcc_lo
	v_cmp_ne_u16_e32 vcc_lo, 0, v5
	s_delay_alu instid0(VALU_DEP_2) | instskip(SKIP_2) | instid1(VALU_DEP_2)
	v_or_b32_e32 v7, v7, v6
	v_cndmask_b32_e64 v5, 0, 1, vcc_lo
	v_cmp_ne_u16_e32 vcc_lo, 0, v13
	v_dual_lshlrev_b32 v7, 16, v7 :: v_dual_bitop2_b32 v5, v5, v6 bitop3:0x54
	v_cndmask_b32_e64 v6, 0, 1, vcc_lo
	v_cmp_ne_u16_e32 vcc_lo, v15, v13
	s_delay_alu instid0(VALU_DEP_3) | instskip(SKIP_3) | instid1(VALU_DEP_3)
	v_dual_add_nc_u32 v15, 5, v10 :: v_dual_lshlrev_b32 v5, 16, v5
	v_add_nc_u32_e32 v16, 6, v10
	v_cndmask_b32_e64 v13, 0, 1, vcc_lo
	v_lshlrev_b16 v6, 8, v6
	v_cmp_gt_u32_e32 vcc_lo, s0, v16
	v_lshlrev_b16 v16, 1, v3
	s_delay_alu instid0(VALU_DEP_4) | instskip(SKIP_2) | instid1(VALU_DEP_2)
	v_lshlrev_b16 v13, 8, v13
	v_cndmask_b32_e32 v5, v5, v7, vcc_lo
	v_cmp_ne_u16_e32 vcc_lo, 0, v9
	v_bitop3_b16 v6, v5, v6, 0xff bitop3:0xec
	v_cndmask_b32_e64 v7, 0, 1, vcc_lo
	v_cmp_ne_u16_e32 vcc_lo, 0, v12
	v_bitop3_b16 v13, v5, v13, 0xff bitop3:0xec
	s_delay_alu instid0(VALU_DEP_4) | instskip(SKIP_2) | instid1(VALU_DEP_4)
	v_and_b32_e32 v6, 0xffff, v6
	v_cndmask_b32_e64 v17, 0, 1, vcc_lo
	v_cmp_ne_u16_e32 vcc_lo, v16, v12
	v_and_b32_e32 v13, 0xffff, v13
	v_lshlrev_b16 v12, 1, v12
	s_delay_alu instid0(VALU_DEP_4) | instskip(SKIP_2) | instid1(VALU_DEP_2)
	v_lshlrev_b16 v17, 8, v17
	v_cndmask_b32_e64 v16, 0, 1, vcc_lo
	v_cmp_gt_u32_e32 vcc_lo, s0, v18
	v_lshlrev_b16 v16, 8, v16
	s_delay_alu instid0(VALU_DEP_1)
	v_cndmask_b32_e32 v16, v17, v16, vcc_lo
	v_cmp_ne_u16_e32 vcc_lo, v19, v3
	v_cndmask_b32_e64 v17, 0, 1, vcc_lo
	v_cmp_gt_u32_e32 vcc_lo, s0, v15
	v_lshlrev_b16 v15, 1, v2
	v_cndmask_b32_e32 v6, v6, v13, vcc_lo
	v_cmp_ne_u16_e32 vcc_lo, v12, v4
	v_or_b32_e32 v13, v17, v16
	v_cndmask_b32_e64 v12, 0, 1, vcc_lo
	v_cmp_ne_u16_e32 vcc_lo, 0, v3
	v_cndmask_b32_e64 v3, 0, 1, vcc_lo
	v_cmp_ne_u16_e32 vcc_lo, 0, v11
	s_delay_alu instid0(VALU_DEP_2) | instskip(SKIP_3) | instid1(VALU_DEP_3)
	v_dual_add_nc_u32 v16, 1, v10 :: v_dual_bitop2_b32 v3, v3, v16 bitop3:0x54
	v_cndmask_b32_e64 v17, 0, 1, vcc_lo
	v_cmp_ne_u16_e32 vcc_lo, v15, v11
	v_add_nc_u32_e32 v15, 2, v10
	v_lshlrev_b16 v17, 8, v17
	v_cndmask_b32_e64 v11, 0, 1, vcc_lo
	v_cmp_ne_u16_e32 vcc_lo, 0, v4
	s_delay_alu instid0(VALU_DEP_2) | instskip(SKIP_2) | instid1(VALU_DEP_2)
	v_lshlrev_b16 v11, 8, v11
	v_cndmask_b32_e64 v4, 0, 1, vcc_lo
	v_cmp_gt_u32_e32 vcc_lo, s0, v15
	v_bitop3_b16 v4, v4, v6, 0x100 bitop3:0xf8
	v_cndmask_b32_e32 v3, v3, v13, vcc_lo
	v_cmp_gt_u32_e32 vcc_lo, s0, v16
	v_bitop3_b16 v6, v12, v6, 0x100 bitop3:0xf8
	s_delay_alu instid0(VALU_DEP_4)
	v_and_b32_e32 v4, 0xffff, v4
	v_cndmask_b32_e32 v11, v17, v11, vcc_lo
	v_cmp_ne_u16_e32 vcc_lo, 0, v2
	v_dual_add_nc_u32 v12, 4, v10 :: v_dual_lshrrev_b32 v13, 8, v3
	v_and_b32_e32 v6, 0xffff, v6
	v_cndmask_b32_e64 v15, 0, 1, vcc_lo
	v_cmp_ne_u16_e32 vcc_lo, v14, v9
	s_delay_alu instid0(VALU_DEP_4) | instskip(SKIP_3) | instid1(VALU_DEP_4)
	v_lshlrev_b16 v13, 8, v13
	v_cndmask_b32_e64 v9, 0, 1, vcc_lo
	v_cmp_gt_u32_e32 vcc_lo, s0, v12
	v_lshrrev_b32_e32 v11, 8, v11
	v_bitop3_b16 v3, v3, v13, 1 bitop3:0xec
	v_cndmask_b32_e32 v4, v4, v6, vcc_lo
	s_delay_alu instid0(VALU_DEP_3) | instskip(SKIP_1) | instid1(VALU_DEP_4)
	v_lshlrev_b16 v11, 8, v11
	v_cmp_gt_u32_e32 vcc_lo, s0, v8
	v_lshlrev_b32_e32 v3, 16, v3
	v_cmp_gt_u32_e64 s0, s0, v10
	s_delay_alu instid0(VALU_DEP_4) | instskip(SKIP_3) | instid1(VALU_DEP_4)
	v_or_b32_e32 v11, v15, v11
	v_cndmask_b32_e32 v8, v7, v9, vcc_lo
	v_cmp_ne_u32_e32 vcc_lo, 0, v0
	v_and_or_b32 v7, 0xffff0000, v5, v4
	v_and_b32_e32 v6, 0xffff, v11
	s_and_b32 s1, vcc_lo, s0
	s_delay_alu instid0(VALU_DEP_1)
	v_or_b32_e32 v6, v6, v3
	s_and_saveexec_b32 s0, s1
	s_cbranch_execz .LBB90_7
; %bb.6:
	s_delay_alu instid0(VALU_DEP_1)
	v_dual_add_nc_u32 v0, -2, v1 :: v_dual_lshrrev_b32 v1, 8, v6
	v_dual_lshrrev_b32 v3, 24, v6 :: v_dual_lshrrev_b32 v4, 16, v6
	v_and_b32_e32 v8, 0xff, v8
	ds_load_u16 v0, v0
	v_lshlrev_b16 v1, 8, v1
	v_lshlrev_b16 v3, 8, v3
	s_wait_dscnt 0x0
	v_lshlrev_b16 v0, 1, v0
	s_delay_alu instid0(VALU_DEP_1) | instskip(NEXT) | instid1(VALU_DEP_3)
	v_cmp_ne_u16_e32 vcc_lo, v0, v2
	v_bitop3_b16 v2, v4, v3, 0xff bitop3:0xec
	v_cndmask_b32_e64 v0, 0, 1, vcc_lo
	s_delay_alu instid0(VALU_DEP_1) | instskip(NEXT) | instid1(VALU_DEP_1)
	v_dual_lshlrev_b32 v1, 16, v2 :: v_dual_bitop2_b32 v0, v0, v1 bitop3:0x54
	v_and_b32_e32 v0, 0xffff, v0
	s_delay_alu instid0(VALU_DEP_1)
	v_or_b32_e32 v6, v0, v1
.LBB90_7:
	s_or_b32 exec_lo, exec_lo, s0
.LBB90_8:
	s_delay_alu instid0(VALU_DEP_2) | instskip(NEXT) | instid1(VALU_DEP_2)
	v_dual_lshlrev_b32 v4, 2, v10 :: v_dual_lshrrev_b32 v15, 24, v7
	v_and_b32_e32 v0, 0xff, v6
	v_bfe_u32 v1, v6, 8, 8
	v_lshrrev_b32_e32 v3, 24, v6
	v_bfe_u32 v2, v6, 16, 8
	s_wait_kmcnt 0x0
	s_lshl_b64 s[0:1], s[8:9], 2
	v_and_b32_e32 v12, 0xff, v7
	v_bfe_u32 v13, v7, 8, 8
	v_bfe_u32 v14, v7, 16, 8
	v_and_b32_e32 v5, 0xff, v8
	s_add_nc_u64 s[0:1], s[2:3], s[0:1]
	s_clause 0x2
	global_store_b128 v4, v[0:3], s[0:1]
	global_store_b128 v4, v[12:15], s[0:1] offset:16
	global_store_b32 v10, v5, s[0:1] offset:32 scale_offset
	s_endpgm
	.section	.rodata,"a",@progbits
	.p2align	6, 0x0
	.amdhsa_kernel _Z33subtract_left_partial_tile_kernelIsbi10custom_op2Lj234ELj9EEvPKT_PiPT1_
		.amdhsa_group_segment_fixed_size 936
		.amdhsa_private_segment_fixed_size 0
		.amdhsa_kernarg_size 24
		.amdhsa_user_sgpr_count 2
		.amdhsa_user_sgpr_dispatch_ptr 0
		.amdhsa_user_sgpr_queue_ptr 0
		.amdhsa_user_sgpr_kernarg_segment_ptr 1
		.amdhsa_user_sgpr_dispatch_id 0
		.amdhsa_user_sgpr_kernarg_preload_length 0
		.amdhsa_user_sgpr_kernarg_preload_offset 0
		.amdhsa_user_sgpr_private_segment_size 0
		.amdhsa_wavefront_size32 1
		.amdhsa_uses_dynamic_stack 0
		.amdhsa_enable_private_segment 0
		.amdhsa_system_sgpr_workgroup_id_x 1
		.amdhsa_system_sgpr_workgroup_id_y 0
		.amdhsa_system_sgpr_workgroup_id_z 0
		.amdhsa_system_sgpr_workgroup_info 0
		.amdhsa_system_vgpr_workitem_id 0
		.amdhsa_next_free_vgpr 26
		.amdhsa_next_free_sgpr 13
		.amdhsa_named_barrier_count 0
		.amdhsa_reserve_vcc 1
		.amdhsa_float_round_mode_32 0
		.amdhsa_float_round_mode_16_64 0
		.amdhsa_float_denorm_mode_32 3
		.amdhsa_float_denorm_mode_16_64 3
		.amdhsa_fp16_overflow 0
		.amdhsa_memory_ordered 1
		.amdhsa_forward_progress 1
		.amdhsa_inst_pref_size 15
		.amdhsa_round_robin_scheduling 0
		.amdhsa_exception_fp_ieee_invalid_op 0
		.amdhsa_exception_fp_denorm_src 0
		.amdhsa_exception_fp_ieee_div_zero 0
		.amdhsa_exception_fp_ieee_overflow 0
		.amdhsa_exception_fp_ieee_underflow 0
		.amdhsa_exception_fp_ieee_inexact 0
		.amdhsa_exception_int_div_zero 0
	.end_amdhsa_kernel
	.section	.text._Z33subtract_left_partial_tile_kernelIsbi10custom_op2Lj234ELj9EEvPKT_PiPT1_,"axG",@progbits,_Z33subtract_left_partial_tile_kernelIsbi10custom_op2Lj234ELj9EEvPKT_PiPT1_,comdat
.Lfunc_end90:
	.size	_Z33subtract_left_partial_tile_kernelIsbi10custom_op2Lj234ELj9EEvPKT_PiPT1_, .Lfunc_end90-_Z33subtract_left_partial_tile_kernelIsbi10custom_op2Lj234ELj9EEvPKT_PiPT1_
                                        ; -- End function
	.set _Z33subtract_left_partial_tile_kernelIsbi10custom_op2Lj234ELj9EEvPKT_PiPT1_.num_vgpr, 26
	.set _Z33subtract_left_partial_tile_kernelIsbi10custom_op2Lj234ELj9EEvPKT_PiPT1_.num_agpr, 0
	.set _Z33subtract_left_partial_tile_kernelIsbi10custom_op2Lj234ELj9EEvPKT_PiPT1_.numbered_sgpr, 13
	.set _Z33subtract_left_partial_tile_kernelIsbi10custom_op2Lj234ELj9EEvPKT_PiPT1_.num_named_barrier, 0
	.set _Z33subtract_left_partial_tile_kernelIsbi10custom_op2Lj234ELj9EEvPKT_PiPT1_.private_seg_size, 0
	.set _Z33subtract_left_partial_tile_kernelIsbi10custom_op2Lj234ELj9EEvPKT_PiPT1_.uses_vcc, 1
	.set _Z33subtract_left_partial_tile_kernelIsbi10custom_op2Lj234ELj9EEvPKT_PiPT1_.uses_flat_scratch, 0
	.set _Z33subtract_left_partial_tile_kernelIsbi10custom_op2Lj234ELj9EEvPKT_PiPT1_.has_dyn_sized_stack, 0
	.set _Z33subtract_left_partial_tile_kernelIsbi10custom_op2Lj234ELj9EEvPKT_PiPT1_.has_recursion, 0
	.set _Z33subtract_left_partial_tile_kernelIsbi10custom_op2Lj234ELj9EEvPKT_PiPT1_.has_indirect_call, 0
	.section	.AMDGPU.csdata,"",@progbits
; Kernel info:
; codeLenInByte = 1920
; TotalNumSgprs: 15
; NumVgprs: 26
; ScratchSize: 0
; MemoryBound: 0
; FloatMode: 240
; IeeeMode: 1
; LDSByteSize: 936 bytes/workgroup (compile time only)
; SGPRBlocks: 0
; VGPRBlocks: 1
; NumSGPRsForWavesPerEU: 15
; NumVGPRsForWavesPerEU: 26
; NamedBarCnt: 0
; Occupancy: 16
; WaveLimiterHint : 0
; COMPUTE_PGM_RSRC2:SCRATCH_EN: 0
; COMPUTE_PGM_RSRC2:USER_SGPR: 2
; COMPUTE_PGM_RSRC2:TRAP_HANDLER: 0
; COMPUTE_PGM_RSRC2:TGID_X_EN: 1
; COMPUTE_PGM_RSRC2:TGID_Y_EN: 0
; COMPUTE_PGM_RSRC2:TGID_Z_EN: 0
; COMPUTE_PGM_RSRC2:TIDIG_COMP_CNT: 0
	.section	.text._Z33subtract_left_partial_tile_kernelItii10custom_op1Lj100ELj3EEvPKT_PiPT1_,"axG",@progbits,_Z33subtract_left_partial_tile_kernelItii10custom_op1Lj100ELj3EEvPKT_PiPT1_,comdat
	.protected	_Z33subtract_left_partial_tile_kernelItii10custom_op1Lj100ELj3EEvPKT_PiPT1_ ; -- Begin function _Z33subtract_left_partial_tile_kernelItii10custom_op1Lj100ELj3EEvPKT_PiPT1_
	.globl	_Z33subtract_left_partial_tile_kernelItii10custom_op1Lj100ELj3EEvPKT_PiPT1_
	.p2align	8
	.type	_Z33subtract_left_partial_tile_kernelItii10custom_op1Lj100ELj3EEvPKT_PiPT1_,@function
_Z33subtract_left_partial_tile_kernelItii10custom_op1Lj100ELj3EEvPKT_PiPT1_: ; @_Z33subtract_left_partial_tile_kernelItii10custom_op1Lj100ELj3EEvPKT_PiPT1_
; %bb.0:
	s_load_b128 s[4:7], s[0:1], 0x0
	s_bfe_u32 s2, ttmp6, 0x4000c
	s_and_b32 s3, ttmp6, 15
	s_add_co_i32 s2, s2, 1
	s_getreg_b32 s8, hwreg(HW_REG_IB_STS2, 6, 4)
	s_mul_i32 s2, ttmp9, s2
	v_mul_u32_u24_e32 v1, 3, v0
	s_add_co_i32 s3, s3, s2
	s_cmp_eq_u32 s8, 0
	s_load_b64 s[8:9], s[0:1], 0x10
	s_cselect_b32 s12, ttmp9, s3
	s_mov_b32 s3, 0
	s_mul_i32 s2, s12, 0x12c
	v_dual_lshlrev_b32 v2, 1, v1 :: v_dual_lshlrev_b32 v7, 1, v0
	s_lshl_b64 s[10:11], s[2:3], 1
	s_bitcmp0_b32 s12, 0
	v_cmp_ne_u32_e32 vcc_lo, 0, v0
	s_wait_kmcnt 0x0
	s_add_nc_u64 s[0:1], s[4:5], s[10:11]
	s_clause 0x1
	global_load_b32 v4, v2, s[0:1]
	global_load_u16 v8, v1, s[0:1] offset:4 scale_offset
	s_wait_xcnt 0x0
	s_load_b32 s1, s[6:7], s12 offset:0x0 scale_offset
	s_wait_loadcnt 0x1
	v_lshrrev_b32_e32 v3, 16, v4
	v_and_b32_e32 v2, 0xffff, v4
	s_cbranch_scc1 .LBB91_4
; %bb.1:
	s_add_co_i32 s0, s2, -1
	s_wait_loadcnt 0x0
	ds_store_b16 v7, v8
	v_mov_b32_e32 v4, s0
	global_load_u16 v4, v4, s[4:5] scale_offset
	s_wait_loadcnt_dscnt 0x0
	s_barrier_signal -1
	s_barrier_wait -1
	s_and_saveexec_b32 s0, vcc_lo
; %bb.2:
	v_add_nc_u32_e32 v4, -2, v7
	ds_load_u16 v4, v4
; %bb.3:
	s_or_b32 exec_lo, exec_lo, s0
	s_wait_kmcnt 0x0
	v_cmp_gt_u32_e32 vcc_lo, s1, v1
	v_sub_nc_u16 v6, v8, v3
	v_and_b32_e32 v5, 0xffff, v8
	v_sub_nc_u16 v9, v3, v2
	s_wait_dscnt 0x0
	v_dual_cndmask_b32 v4, 0, v4, vcc_lo :: v_dual_add_nc_u32 v10, 2, v1
	v_and_b32_e32 v6, 0xffff, v6
	s_delay_alu instid0(VALU_DEP_3) | instskip(NEXT) | instid1(VALU_DEP_3)
	v_and_b32_e32 v9, 0xffff, v9
	v_sub_nc_u16 v4, v2, v4
	s_delay_alu instid0(VALU_DEP_4) | instskip(SKIP_1) | instid1(VALU_DEP_3)
	v_cmp_gt_u32_e32 vcc_lo, s1, v10
	v_add_nc_u32_e32 v11, 1, v1
	v_and_b32_e32 v4, 0xffff, v4
	v_cndmask_b32_e32 v6, v5, v6, vcc_lo
	s_delay_alu instid0(VALU_DEP_3)
	v_cmp_gt_u32_e32 vcc_lo, s1, v11
	v_cndmask_b32_e32 v5, v3, v9, vcc_lo
	s_branch .LBB91_8
.LBB91_4:
                                        ; implicit-def: $vgpr4_vgpr5_vgpr6
	s_cbranch_execz .LBB91_8
; %bb.5:
	s_wait_loadcnt 0x0
	v_sub_nc_u16 v4, v8, v3
	v_and_b32_e32 v5, 0xffff, v8
	ds_store_b16 v7, v8
	v_dual_add_nc_u32 v8, 2, v1 :: v_dual_add_nc_u32 v9, 1, v1
	v_sub_nc_u16 v6, v3, v2
	v_and_b32_e32 v4, 0xffff, v4
	v_cmp_ne_u32_e32 vcc_lo, 0, v0
	s_wait_kmcnt 0x0
	v_cmp_gt_u32_e64 s0, s1, v8
	s_wait_dscnt 0x0
	v_and_b32_e32 v0, 0xffff, v6
	s_barrier_signal -1
	s_barrier_wait -1
	v_cndmask_b32_e64 v4, v5, v4, s0
	v_cmp_gt_u32_e64 s0, s1, v1
	v_cmp_gt_u32_e64 s1, s1, v9
	s_delay_alu instid0(VALU_DEP_1) | instskip(NEXT) | instid1(VALU_DEP_3)
	v_cndmask_b32_e64 v3, v3, v0, s1
	s_and_b32 s1, vcc_lo, s0
	s_delay_alu instid0(SALU_CYCLE_1)
	s_and_saveexec_b32 s0, s1
	s_cbranch_execz .LBB91_7
; %bb.6:
	v_add_nc_u32_e32 v0, -2, v7
	ds_load_u16 v0, v0
	s_wait_dscnt 0x0
	v_sub_nc_u16 v0, v2, v0
	s_delay_alu instid0(VALU_DEP_1)
	v_and_b32_e32 v2, 0xffff, v0
.LBB91_7:
	s_or_b32 exec_lo, exec_lo, s0
	v_mov_b32_e32 v6, v4
	s_delay_alu instid0(VALU_DEP_2)
	v_dual_mov_b32 v5, v3 :: v_dual_mov_b32 v4, v2
.LBB91_8:
	v_lshlrev_b32_e32 v0, 2, v1
	s_wait_kmcnt 0x0
	s_lshl_b64 s[0:1], s[2:3], 2
	s_delay_alu instid0(SALU_CYCLE_1)
	s_add_nc_u64 s[0:1], s[8:9], s[0:1]
	global_store_b96 v0, v[4:6], s[0:1]
	s_endpgm
	.section	.rodata,"a",@progbits
	.p2align	6, 0x0
	.amdhsa_kernel _Z33subtract_left_partial_tile_kernelItii10custom_op1Lj100ELj3EEvPKT_PiPT1_
		.amdhsa_group_segment_fixed_size 400
		.amdhsa_private_segment_fixed_size 0
		.amdhsa_kernarg_size 24
		.amdhsa_user_sgpr_count 2
		.amdhsa_user_sgpr_dispatch_ptr 0
		.amdhsa_user_sgpr_queue_ptr 0
		.amdhsa_user_sgpr_kernarg_segment_ptr 1
		.amdhsa_user_sgpr_dispatch_id 0
		.amdhsa_user_sgpr_kernarg_preload_length 0
		.amdhsa_user_sgpr_kernarg_preload_offset 0
		.amdhsa_user_sgpr_private_segment_size 0
		.amdhsa_wavefront_size32 1
		.amdhsa_uses_dynamic_stack 0
		.amdhsa_enable_private_segment 0
		.amdhsa_system_sgpr_workgroup_id_x 1
		.amdhsa_system_sgpr_workgroup_id_y 0
		.amdhsa_system_sgpr_workgroup_id_z 0
		.amdhsa_system_sgpr_workgroup_info 0
		.amdhsa_system_vgpr_workitem_id 0
		.amdhsa_next_free_vgpr 12
		.amdhsa_next_free_sgpr 13
		.amdhsa_named_barrier_count 0
		.amdhsa_reserve_vcc 1
		.amdhsa_float_round_mode_32 0
		.amdhsa_float_round_mode_16_64 0
		.amdhsa_float_denorm_mode_32 3
		.amdhsa_float_denorm_mode_16_64 3
		.amdhsa_fp16_overflow 0
		.amdhsa_memory_ordered 1
		.amdhsa_forward_progress 1
		.amdhsa_inst_pref_size 5
		.amdhsa_round_robin_scheduling 0
		.amdhsa_exception_fp_ieee_invalid_op 0
		.amdhsa_exception_fp_denorm_src 0
		.amdhsa_exception_fp_ieee_div_zero 0
		.amdhsa_exception_fp_ieee_overflow 0
		.amdhsa_exception_fp_ieee_underflow 0
		.amdhsa_exception_fp_ieee_inexact 0
		.amdhsa_exception_int_div_zero 0
	.end_amdhsa_kernel
	.section	.text._Z33subtract_left_partial_tile_kernelItii10custom_op1Lj100ELj3EEvPKT_PiPT1_,"axG",@progbits,_Z33subtract_left_partial_tile_kernelItii10custom_op1Lj100ELj3EEvPKT_PiPT1_,comdat
.Lfunc_end91:
	.size	_Z33subtract_left_partial_tile_kernelItii10custom_op1Lj100ELj3EEvPKT_PiPT1_, .Lfunc_end91-_Z33subtract_left_partial_tile_kernelItii10custom_op1Lj100ELj3EEvPKT_PiPT1_
                                        ; -- End function
	.set _Z33subtract_left_partial_tile_kernelItii10custom_op1Lj100ELj3EEvPKT_PiPT1_.num_vgpr, 12
	.set _Z33subtract_left_partial_tile_kernelItii10custom_op1Lj100ELj3EEvPKT_PiPT1_.num_agpr, 0
	.set _Z33subtract_left_partial_tile_kernelItii10custom_op1Lj100ELj3EEvPKT_PiPT1_.numbered_sgpr, 13
	.set _Z33subtract_left_partial_tile_kernelItii10custom_op1Lj100ELj3EEvPKT_PiPT1_.num_named_barrier, 0
	.set _Z33subtract_left_partial_tile_kernelItii10custom_op1Lj100ELj3EEvPKT_PiPT1_.private_seg_size, 0
	.set _Z33subtract_left_partial_tile_kernelItii10custom_op1Lj100ELj3EEvPKT_PiPT1_.uses_vcc, 1
	.set _Z33subtract_left_partial_tile_kernelItii10custom_op1Lj100ELj3EEvPKT_PiPT1_.uses_flat_scratch, 0
	.set _Z33subtract_left_partial_tile_kernelItii10custom_op1Lj100ELj3EEvPKT_PiPT1_.has_dyn_sized_stack, 0
	.set _Z33subtract_left_partial_tile_kernelItii10custom_op1Lj100ELj3EEvPKT_PiPT1_.has_recursion, 0
	.set _Z33subtract_left_partial_tile_kernelItii10custom_op1Lj100ELj3EEvPKT_PiPT1_.has_indirect_call, 0
	.section	.AMDGPU.csdata,"",@progbits
; Kernel info:
; codeLenInByte = 580
; TotalNumSgprs: 15
; NumVgprs: 12
; ScratchSize: 0
; MemoryBound: 0
; FloatMode: 240
; IeeeMode: 1
; LDSByteSize: 400 bytes/workgroup (compile time only)
; SGPRBlocks: 0
; VGPRBlocks: 0
; NumSGPRsForWavesPerEU: 15
; NumVGPRsForWavesPerEU: 12
; NamedBarCnt: 0
; Occupancy: 16
; WaveLimiterHint : 0
; COMPUTE_PGM_RSRC2:SCRATCH_EN: 0
; COMPUTE_PGM_RSRC2:USER_SGPR: 2
; COMPUTE_PGM_RSRC2:TRAP_HANDLER: 0
; COMPUTE_PGM_RSRC2:TGID_X_EN: 1
; COMPUTE_PGM_RSRC2:TGID_Y_EN: 0
; COMPUTE_PGM_RSRC2:TGID_Z_EN: 0
; COMPUTE_PGM_RSRC2:TIDIG_COMP_CNT: 0
	.section	.text._Z33subtract_left_partial_tile_kernelIdjjN6hipcub3SumELj464ELj2EEvPKT_PiPT1_,"axG",@progbits,_Z33subtract_left_partial_tile_kernelIdjjN6hipcub3SumELj464ELj2EEvPKT_PiPT1_,comdat
	.protected	_Z33subtract_left_partial_tile_kernelIdjjN6hipcub3SumELj464ELj2EEvPKT_PiPT1_ ; -- Begin function _Z33subtract_left_partial_tile_kernelIdjjN6hipcub3SumELj464ELj2EEvPKT_PiPT1_
	.globl	_Z33subtract_left_partial_tile_kernelIdjjN6hipcub3SumELj464ELj2EEvPKT_PiPT1_
	.p2align	8
	.type	_Z33subtract_left_partial_tile_kernelIdjjN6hipcub3SumELj464ELj2EEvPKT_PiPT1_,@function
_Z33subtract_left_partial_tile_kernelIdjjN6hipcub3SumELj464ELj2EEvPKT_PiPT1_: ; @_Z33subtract_left_partial_tile_kernelIdjjN6hipcub3SumELj464ELj2EEvPKT_PiPT1_
; %bb.0:
	s_load_b128 s[4:7], s[0:1], 0x0
	s_bfe_u32 s2, ttmp6, 0x4000c
	s_and_b32 s3, ttmp6, 15
	s_add_co_i32 s2, s2, 1
	s_getreg_b32 s8, hwreg(HW_REG_IB_STS2, 6, 4)
	s_mul_i32 s2, ttmp9, s2
	v_dual_lshlrev_b32 v6, 1, v0 :: v_dual_lshlrev_b32 v1, 3, v0
	s_add_co_i32 s3, s3, s2
	s_cmp_eq_u32 s8, 0
	s_load_b64 s[8:9], s[0:1], 0x10
	s_cselect_b32 s12, ttmp9, s3
	s_mov_b32 s3, 0
	s_mul_i32 s2, s12, 0x3a0
	v_cmp_ne_u32_e32 vcc_lo, 0, v0
	s_lshl_b64 s[10:11], s[2:3], 3
	s_bitcmp0_b32 s12, 0
	s_wait_kmcnt 0x0
	s_add_nc_u64 s[0:1], s[4:5], s[10:11]
	global_load_b128 v[2:5], v0, s[0:1] scale_offset
	s_wait_xcnt 0x0
	s_load_b32 s1, s[6:7], s12 offset:0x0 scale_offset
	s_cbranch_scc1 .LBB92_4
; %bb.1:
	s_add_co_i32 s0, s2, -1
	s_wait_loadcnt 0x0
	ds_store_b64 v1, v[4:5]
	s_load_b64 s[4:5], s[4:5], s0 offset:0x0 scale_offset
	s_wait_dscnt 0x0
	s_barrier_signal -1
	s_barrier_wait -1
	s_wait_kmcnt 0x0
	v_mov_b64_e32 v[8:9], s[4:5]
	s_and_saveexec_b32 s0, vcc_lo
; %bb.2:
	v_add_nc_u32_e32 v7, -8, v1
	ds_load_b64 v[8:9], v7
; %bb.3:
	s_or_b32 exec_lo, exec_lo, s0
	v_dual_add_f64 v[10:11], v[2:3], v[4:5] :: v_dual_bitop2_b32 v7, 1, v6 bitop3:0x54
	v_cmp_gt_u32_e64 s0, s1, v6
	s_delay_alu instid0(VALU_DEP_2) | instskip(SKIP_1) | instid1(VALU_DEP_3)
	v_cmp_gt_u32_e32 vcc_lo, s1, v7
	s_wait_dscnt 0x0
	v_dual_add_f64 v[8:9], v[2:3], v[8:9] :: v_dual_cndmask_b32 v11, v5, v11, vcc_lo
	s_delay_alu instid0(VALU_DEP_1) | instskip(NEXT) | instid1(VALU_DEP_2)
	v_dual_cndmask_b32 v10, v4, v10, vcc_lo :: v_dual_cndmask_b32 v13, v3, v9, s0
	v_cndmask_b32_e64 v12, v2, v8, s0
	s_delay_alu instid0(VALU_DEP_2) | instskip(NEXT) | instid1(VALU_DEP_2)
	v_cvt_u32_f64_e32 v9, v[10:11]
	v_cvt_u32_f64_e32 v8, v[12:13]
	s_branch .LBB92_8
.LBB92_4:
                                        ; implicit-def: $vgpr8_vgpr9
	s_cbranch_execz .LBB92_8
; %bb.5:
	s_wait_loadcnt 0x0
	v_dual_add_f64 v[8:9], v[2:3], v[4:5] :: v_dual_bitop2_b32 v7, 1, v6 bitop3:0x54
	s_wait_kmcnt 0x0
	v_cmp_gt_u32_e64 s0, s1, v6
	ds_store_b64 v1, v[4:5]
	s_wait_dscnt 0x0
	s_barrier_signal -1
	v_cmp_gt_u32_e32 vcc_lo, s1, v7
	s_barrier_wait -1
	v_dual_cndmask_b32 v9, v5, v9 :: v_dual_cndmask_b32 v8, v4, v8
	v_cmp_ne_u32_e32 vcc_lo, 0, v0
	s_delay_alu instid0(VALU_DEP_2) | instskip(SKIP_2) | instid1(SALU_CYCLE_1)
	v_cvt_u32_f64_e32 v9, v[8:9]
	v_cvt_u32_f64_e32 v8, v[2:3]
	s_and_b32 s1, vcc_lo, s0
	s_and_saveexec_b32 s0, s1
	s_cbranch_execz .LBB92_7
; %bb.6:
	v_add_nc_u32_e32 v0, -8, v1
	ds_load_b64 v[0:1], v0
	s_wait_dscnt 0x0
	v_add_f64_e32 v[0:1], v[2:3], v[0:1]
	s_delay_alu instid0(VALU_DEP_1)
	v_cvt_u32_f64_e32 v8, v[0:1]
.LBB92_7:
	s_or_b32 exec_lo, exec_lo, s0
.LBB92_8:
	v_lshlrev_b32_e32 v0, 2, v6
	s_wait_kmcnt 0x0
	s_lshl_b64 s[0:1], s[2:3], 2
	s_delay_alu instid0(SALU_CYCLE_1)
	s_add_nc_u64 s[0:1], s[8:9], s[0:1]
	global_store_b64 v0, v[8:9], s[0:1]
	s_endpgm
	.section	.rodata,"a",@progbits
	.p2align	6, 0x0
	.amdhsa_kernel _Z33subtract_left_partial_tile_kernelIdjjN6hipcub3SumELj464ELj2EEvPKT_PiPT1_
		.amdhsa_group_segment_fixed_size 7424
		.amdhsa_private_segment_fixed_size 0
		.amdhsa_kernarg_size 24
		.amdhsa_user_sgpr_count 2
		.amdhsa_user_sgpr_dispatch_ptr 0
		.amdhsa_user_sgpr_queue_ptr 0
		.amdhsa_user_sgpr_kernarg_segment_ptr 1
		.amdhsa_user_sgpr_dispatch_id 0
		.amdhsa_user_sgpr_kernarg_preload_length 0
		.amdhsa_user_sgpr_kernarg_preload_offset 0
		.amdhsa_user_sgpr_private_segment_size 0
		.amdhsa_wavefront_size32 1
		.amdhsa_uses_dynamic_stack 0
		.amdhsa_enable_private_segment 0
		.amdhsa_system_sgpr_workgroup_id_x 1
		.amdhsa_system_sgpr_workgroup_id_y 0
		.amdhsa_system_sgpr_workgroup_id_z 0
		.amdhsa_system_sgpr_workgroup_info 0
		.amdhsa_system_vgpr_workitem_id 0
		.amdhsa_next_free_vgpr 14
		.amdhsa_next_free_sgpr 13
		.amdhsa_named_barrier_count 0
		.amdhsa_reserve_vcc 1
		.amdhsa_float_round_mode_32 0
		.amdhsa_float_round_mode_16_64 0
		.amdhsa_float_denorm_mode_32 3
		.amdhsa_float_denorm_mode_16_64 3
		.amdhsa_fp16_overflow 0
		.amdhsa_memory_ordered 1
		.amdhsa_forward_progress 1
		.amdhsa_inst_pref_size 4
		.amdhsa_round_robin_scheduling 0
		.amdhsa_exception_fp_ieee_invalid_op 0
		.amdhsa_exception_fp_denorm_src 0
		.amdhsa_exception_fp_ieee_div_zero 0
		.amdhsa_exception_fp_ieee_overflow 0
		.amdhsa_exception_fp_ieee_underflow 0
		.amdhsa_exception_fp_ieee_inexact 0
		.amdhsa_exception_int_div_zero 0
	.end_amdhsa_kernel
	.section	.text._Z33subtract_left_partial_tile_kernelIdjjN6hipcub3SumELj464ELj2EEvPKT_PiPT1_,"axG",@progbits,_Z33subtract_left_partial_tile_kernelIdjjN6hipcub3SumELj464ELj2EEvPKT_PiPT1_,comdat
.Lfunc_end92:
	.size	_Z33subtract_left_partial_tile_kernelIdjjN6hipcub3SumELj464ELj2EEvPKT_PiPT1_, .Lfunc_end92-_Z33subtract_left_partial_tile_kernelIdjjN6hipcub3SumELj464ELj2EEvPKT_PiPT1_
                                        ; -- End function
	.set _Z33subtract_left_partial_tile_kernelIdjjN6hipcub3SumELj464ELj2EEvPKT_PiPT1_.num_vgpr, 14
	.set _Z33subtract_left_partial_tile_kernelIdjjN6hipcub3SumELj464ELj2EEvPKT_PiPT1_.num_agpr, 0
	.set _Z33subtract_left_partial_tile_kernelIdjjN6hipcub3SumELj464ELj2EEvPKT_PiPT1_.numbered_sgpr, 13
	.set _Z33subtract_left_partial_tile_kernelIdjjN6hipcub3SumELj464ELj2EEvPKT_PiPT1_.num_named_barrier, 0
	.set _Z33subtract_left_partial_tile_kernelIdjjN6hipcub3SumELj464ELj2EEvPKT_PiPT1_.private_seg_size, 0
	.set _Z33subtract_left_partial_tile_kernelIdjjN6hipcub3SumELj464ELj2EEvPKT_PiPT1_.uses_vcc, 1
	.set _Z33subtract_left_partial_tile_kernelIdjjN6hipcub3SumELj464ELj2EEvPKT_PiPT1_.uses_flat_scratch, 0
	.set _Z33subtract_left_partial_tile_kernelIdjjN6hipcub3SumELj464ELj2EEvPKT_PiPT1_.has_dyn_sized_stack, 0
	.set _Z33subtract_left_partial_tile_kernelIdjjN6hipcub3SumELj464ELj2EEvPKT_PiPT1_.has_recursion, 0
	.set _Z33subtract_left_partial_tile_kernelIdjjN6hipcub3SumELj464ELj2EEvPKT_PiPT1_.has_indirect_call, 0
	.section	.AMDGPU.csdata,"",@progbits
; Kernel info:
; codeLenInByte = 432
; TotalNumSgprs: 15
; NumVgprs: 14
; ScratchSize: 0
; MemoryBound: 0
; FloatMode: 240
; IeeeMode: 1
; LDSByteSize: 7424 bytes/workgroup (compile time only)
; SGPRBlocks: 0
; VGPRBlocks: 0
; NumSGPRsForWavesPerEU: 15
; NumVGPRsForWavesPerEU: 14
; NamedBarCnt: 0
; Occupancy: 15
; WaveLimiterHint : 0
; COMPUTE_PGM_RSRC2:SCRATCH_EN: 0
; COMPUTE_PGM_RSRC2:USER_SGPR: 2
; COMPUTE_PGM_RSRC2:TRAP_HANDLER: 0
; COMPUTE_PGM_RSRC2:TGID_X_EN: 1
; COMPUTE_PGM_RSRC2:TGID_Y_EN: 0
; COMPUTE_PGM_RSRC2:TGID_Z_EN: 0
; COMPUTE_PGM_RSRC2:TIDIG_COMP_CNT: 0
	.section	.text._Z33subtract_left_partial_tile_kernelIdii10custom_op2Lj33ELj5EEvPKT_PiPT1_,"axG",@progbits,_Z33subtract_left_partial_tile_kernelIdii10custom_op2Lj33ELj5EEvPKT_PiPT1_,comdat
	.protected	_Z33subtract_left_partial_tile_kernelIdii10custom_op2Lj33ELj5EEvPKT_PiPT1_ ; -- Begin function _Z33subtract_left_partial_tile_kernelIdii10custom_op2Lj33ELj5EEvPKT_PiPT1_
	.globl	_Z33subtract_left_partial_tile_kernelIdii10custom_op2Lj33ELj5EEvPKT_PiPT1_
	.p2align	8
	.type	_Z33subtract_left_partial_tile_kernelIdii10custom_op2Lj33ELj5EEvPKT_PiPT1_,@function
_Z33subtract_left_partial_tile_kernelIdii10custom_op2Lj33ELj5EEvPKT_PiPT1_: ; @_Z33subtract_left_partial_tile_kernelIdii10custom_op2Lj33ELj5EEvPKT_PiPT1_
; %bb.0:
	s_load_b128 s[4:7], s[0:1], 0x0
	s_bfe_u32 s2, ttmp6, 0x4000c
	s_and_b32 s3, ttmp6, 15
	s_add_co_i32 s2, s2, 1
	s_getreg_b32 s8, hwreg(HW_REG_IB_STS2, 6, 4)
	s_mul_i32 s2, ttmp9, s2
	v_mul_u32_u24_e32 v1, 5, v0
	s_add_co_i32 s3, s3, s2
	s_cmp_eq_u32 s8, 0
	s_load_b64 s[8:9], s[0:1], 0x10
	s_cselect_b32 s12, ttmp9, s3
	s_mov_b32 s3, 0
	s_mul_i32 s2, s12, 0xa5
	v_dual_lshlrev_b32 v6, 3, v1 :: v_dual_lshlrev_b32 v21, 3, v0
	s_lshl_b64 s[10:11], s[2:3], 3
	v_add_nc_u32_e32 v23, 4, v1
	s_bitcmp0_b32 s12, 0
	s_wait_kmcnt 0x0
	s_add_nc_u64 s[0:1], s[4:5], s[10:11]
	s_clause 0x2
	global_load_b64 v[14:15], v1, s[0:1] offset:32 scale_offset
	global_load_b128 v[10:13], v6, s[0:1] offset:16
	global_load_b128 v[2:5], v6, s[0:1]
	s_load_b32 s6, s[6:7], s12 offset:0x0 scale_offset
	s_wait_loadcnt 0x2
	v_cvt_i32_f64_e32 v20, v[14:15]
	s_cbranch_scc1 .LBB93_14
; %bb.1:
	v_cvt_i32_f64_e32 v22, v[14:15]
	s_add_co_i32 s0, s2, -1
	ds_store_b64 v21, v[14:15]
	s_load_b64 s[0:1], s[4:5], s0 offset:0x0 scale_offset
	s_wait_xcnt 0x0
	s_mov_b32 s4, exec_lo
	s_wait_kmcnt 0x0
	v_cmpx_gt_u32_e64 s6, v23
	s_cbranch_execz .LBB93_3
; %bb.2:
	s_wait_loadcnt 0x1
	v_fma_f64 v[6:7], v[12:13], 2.0, -v[14:15]
	s_delay_alu instid0(VALU_DEP_1)
	v_cvt_i32_f64_e32 v22, v[6:7]
.LBB93_3:
	s_or_b32 exec_lo, exec_lo, s4
	s_wait_loadcnt 0x1
	v_cvt_i32_f64_e32 v9, v[12:13]
	v_add_nc_u32_e32 v6, 3, v1
	s_mov_b32 s4, exec_lo
	s_delay_alu instid0(VALU_DEP_1)
	v_cmpx_gt_u32_e64 s6, v6
	s_cbranch_execz .LBB93_5
; %bb.4:
	v_fma_f64 v[6:7], v[10:11], 2.0, -v[12:13]
	s_delay_alu instid0(VALU_DEP_1)
	v_cvt_i32_f64_e32 v9, v[6:7]
.LBB93_5:
	s_or_b32 exec_lo, exec_lo, s4
	v_cvt_i32_f64_e32 v8, v[10:11]
	v_add_nc_u32_e32 v6, 2, v1
	s_mov_b32 s4, exec_lo
	s_delay_alu instid0(VALU_DEP_1)
	v_cmpx_gt_u32_e64 s6, v6
	s_cbranch_execz .LBB93_7
; %bb.6:
	s_wait_loadcnt 0x0
	v_fma_f64 v[6:7], v[4:5], 2.0, -v[10:11]
	s_delay_alu instid0(VALU_DEP_1)
	v_cvt_i32_f64_e32 v8, v[6:7]
.LBB93_7:
	s_or_b32 exec_lo, exec_lo, s4
	s_wait_loadcnt 0x0
	v_cvt_i32_f64_e32 v7, v[4:5]
	v_add_nc_u32_e32 v6, 1, v1
	s_mov_b32 s4, exec_lo
	s_delay_alu instid0(VALU_DEP_1)
	v_cmpx_gt_u32_e64 s6, v6
	s_cbranch_execz .LBB93_9
; %bb.8:
	v_fma_f64 v[6:7], v[2:3], 2.0, -v[4:5]
	s_delay_alu instid0(VALU_DEP_1)
	v_cvt_i32_f64_e32 v7, v[6:7]
.LBB93_9:
	s_or_b32 exec_lo, exec_lo, s4
	v_mov_b64_e32 v[16:17], s[0:1]
	s_mov_b32 s0, exec_lo
	s_wait_dscnt 0x0
	s_barrier_signal -1
	s_barrier_wait -1
	v_cmpx_ne_u32_e32 0, v0
; %bb.10:
	v_add_nc_u32_e32 v6, -8, v21
	ds_load_b64 v[16:17], v6
; %bb.11:
	s_or_b32 exec_lo, exec_lo, s0
	v_mov_b64_e32 v[18:19], v[2:3]
	s_mov_b32 s0, exec_lo
	v_cmpx_gt_u32_e64 s6, v1
	s_cbranch_execz .LBB93_13
; %bb.12:
	s_wait_dscnt 0x0
	v_fma_f64 v[18:19], v[16:17], 2.0, -v[2:3]
.LBB93_13:
	s_or_b32 exec_lo, exec_lo, s0
	s_delay_alu instid0(VALU_DEP_1)
	v_cvt_i32_f64_e32 v6, v[18:19]
	s_branch .LBB93_26
.LBB93_14:
                                        ; implicit-def: $vgpr22
                                        ; implicit-def: $vgpr9
	s_cbranch_execz .LBB93_26
; %bb.15:
	s_mov_b32 s0, exec_lo
	ds_store_b64 v21, v[14:15]
	s_wait_kmcnt 0x0
	v_cmpx_gt_u32_e64 s6, v23
	s_cbranch_execz .LBB93_17
; %bb.16:
	s_wait_loadcnt 0x1
	v_fma_f64 v[6:7], v[12:13], 2.0, -v[14:15]
	s_delay_alu instid0(VALU_DEP_1)
	v_cvt_i32_f64_e32 v20, v[6:7]
.LBB93_17:
	s_or_b32 exec_lo, exec_lo, s0
	s_wait_loadcnt 0x1
	v_cvt_i32_f64_e32 v9, v[12:13]
	v_add_nc_u32_e32 v6, 3, v1
	s_mov_b32 s0, exec_lo
	s_delay_alu instid0(VALU_DEP_1)
	v_cmpx_gt_u32_e64 s6, v6
	s_cbranch_execz .LBB93_19
; %bb.18:
	v_fma_f64 v[6:7], v[10:11], 2.0, -v[12:13]
	s_delay_alu instid0(VALU_DEP_1)
	v_cvt_i32_f64_e32 v9, v[6:7]
.LBB93_19:
	s_or_b32 exec_lo, exec_lo, s0
	v_cvt_i32_f64_e32 v8, v[10:11]
	v_add_nc_u32_e32 v6, 2, v1
	s_mov_b32 s0, exec_lo
	s_delay_alu instid0(VALU_DEP_1)
	v_cmpx_gt_u32_e64 s6, v6
	s_cbranch_execz .LBB93_21
; %bb.20:
	s_wait_loadcnt 0x0
	v_fma_f64 v[6:7], v[4:5], 2.0, -v[10:11]
	s_delay_alu instid0(VALU_DEP_1)
	v_cvt_i32_f64_e32 v8, v[6:7]
.LBB93_21:
	s_or_b32 exec_lo, exec_lo, s0
	s_wait_loadcnt 0x0
	v_cvt_i32_f64_e32 v7, v[4:5]
	v_add_nc_u32_e32 v6, 1, v1
	s_mov_b32 s0, exec_lo
	s_delay_alu instid0(VALU_DEP_1)
	v_cmpx_gt_u32_e64 s6, v6
	s_cbranch_execz .LBB93_23
; %bb.22:
	v_fma_f64 v[4:5], v[2:3], 2.0, -v[4:5]
	s_delay_alu instid0(VALU_DEP_1)
	v_cvt_i32_f64_e32 v7, v[4:5]
.LBB93_23:
	s_or_b32 exec_lo, exec_lo, s0
	v_cvt_i32_f64_e32 v6, v[2:3]
	v_cmp_ne_u32_e32 vcc_lo, 0, v0
	v_cmp_gt_u32_e64 s0, s6, v1
	s_wait_dscnt 0x0
	s_barrier_signal -1
	s_barrier_wait -1
	s_and_b32 s1, vcc_lo, s0
	s_delay_alu instid0(SALU_CYCLE_1)
	s_and_saveexec_b32 s0, s1
	s_cbranch_execz .LBB93_25
; %bb.24:
	v_add_nc_u32_e32 v0, -8, v21
	ds_load_b64 v[4:5], v0
	s_wait_dscnt 0x0
	v_fma_f64 v[2:3], v[4:5], 2.0, -v[2:3]
	s_delay_alu instid0(VALU_DEP_1)
	v_cvt_i32_f64_e32 v6, v[2:3]
.LBB93_25:
	s_or_b32 exec_lo, exec_lo, s0
	v_mov_b32_e32 v22, v20
.LBB93_26:
	v_lshlrev_b32_e32 v0, 2, v1
	s_lshl_b64 s[0:1], s[2:3], 2
	s_delay_alu instid0(SALU_CYCLE_1)
	s_add_nc_u64 s[0:1], s[8:9], s[0:1]
	s_clause 0x1
	global_store_b128 v0, v[6:9], s[0:1]
	global_store_b32 v1, v22, s[0:1] offset:16 scale_offset
	s_endpgm
	.section	.rodata,"a",@progbits
	.p2align	6, 0x0
	.amdhsa_kernel _Z33subtract_left_partial_tile_kernelIdii10custom_op2Lj33ELj5EEvPKT_PiPT1_
		.amdhsa_group_segment_fixed_size 528
		.amdhsa_private_segment_fixed_size 0
		.amdhsa_kernarg_size 24
		.amdhsa_user_sgpr_count 2
		.amdhsa_user_sgpr_dispatch_ptr 0
		.amdhsa_user_sgpr_queue_ptr 0
		.amdhsa_user_sgpr_kernarg_segment_ptr 1
		.amdhsa_user_sgpr_dispatch_id 0
		.amdhsa_user_sgpr_kernarg_preload_length 0
		.amdhsa_user_sgpr_kernarg_preload_offset 0
		.amdhsa_user_sgpr_private_segment_size 0
		.amdhsa_wavefront_size32 1
		.amdhsa_uses_dynamic_stack 0
		.amdhsa_enable_private_segment 0
		.amdhsa_system_sgpr_workgroup_id_x 1
		.amdhsa_system_sgpr_workgroup_id_y 0
		.amdhsa_system_sgpr_workgroup_id_z 0
		.amdhsa_system_sgpr_workgroup_info 0
		.amdhsa_system_vgpr_workitem_id 0
		.amdhsa_next_free_vgpr 24
		.amdhsa_next_free_sgpr 13
		.amdhsa_named_barrier_count 0
		.amdhsa_reserve_vcc 1
		.amdhsa_float_round_mode_32 0
		.amdhsa_float_round_mode_16_64 0
		.amdhsa_float_denorm_mode_32 3
		.amdhsa_float_denorm_mode_16_64 3
		.amdhsa_fp16_overflow 0
		.amdhsa_memory_ordered 1
		.amdhsa_forward_progress 1
		.amdhsa_inst_pref_size 7
		.amdhsa_round_robin_scheduling 0
		.amdhsa_exception_fp_ieee_invalid_op 0
		.amdhsa_exception_fp_denorm_src 0
		.amdhsa_exception_fp_ieee_div_zero 0
		.amdhsa_exception_fp_ieee_overflow 0
		.amdhsa_exception_fp_ieee_underflow 0
		.amdhsa_exception_fp_ieee_inexact 0
		.amdhsa_exception_int_div_zero 0
	.end_amdhsa_kernel
	.section	.text._Z33subtract_left_partial_tile_kernelIdii10custom_op2Lj33ELj5EEvPKT_PiPT1_,"axG",@progbits,_Z33subtract_left_partial_tile_kernelIdii10custom_op2Lj33ELj5EEvPKT_PiPT1_,comdat
.Lfunc_end93:
	.size	_Z33subtract_left_partial_tile_kernelIdii10custom_op2Lj33ELj5EEvPKT_PiPT1_, .Lfunc_end93-_Z33subtract_left_partial_tile_kernelIdii10custom_op2Lj33ELj5EEvPKT_PiPT1_
                                        ; -- End function
	.set _Z33subtract_left_partial_tile_kernelIdii10custom_op2Lj33ELj5EEvPKT_PiPT1_.num_vgpr, 24
	.set _Z33subtract_left_partial_tile_kernelIdii10custom_op2Lj33ELj5EEvPKT_PiPT1_.num_agpr, 0
	.set _Z33subtract_left_partial_tile_kernelIdii10custom_op2Lj33ELj5EEvPKT_PiPT1_.numbered_sgpr, 13
	.set _Z33subtract_left_partial_tile_kernelIdii10custom_op2Lj33ELj5EEvPKT_PiPT1_.num_named_barrier, 0
	.set _Z33subtract_left_partial_tile_kernelIdii10custom_op2Lj33ELj5EEvPKT_PiPT1_.private_seg_size, 0
	.set _Z33subtract_left_partial_tile_kernelIdii10custom_op2Lj33ELj5EEvPKT_PiPT1_.uses_vcc, 1
	.set _Z33subtract_left_partial_tile_kernelIdii10custom_op2Lj33ELj5EEvPKT_PiPT1_.uses_flat_scratch, 0
	.set _Z33subtract_left_partial_tile_kernelIdii10custom_op2Lj33ELj5EEvPKT_PiPT1_.has_dyn_sized_stack, 0
	.set _Z33subtract_left_partial_tile_kernelIdii10custom_op2Lj33ELj5EEvPKT_PiPT1_.has_recursion, 0
	.set _Z33subtract_left_partial_tile_kernelIdii10custom_op2Lj33ELj5EEvPKT_PiPT1_.has_indirect_call, 0
	.section	.AMDGPU.csdata,"",@progbits
; Kernel info:
; codeLenInByte = 820
; TotalNumSgprs: 15
; NumVgprs: 24
; ScratchSize: 0
; MemoryBound: 0
; FloatMode: 240
; IeeeMode: 1
; LDSByteSize: 528 bytes/workgroup (compile time only)
; SGPRBlocks: 0
; VGPRBlocks: 1
; NumSGPRsForWavesPerEU: 15
; NumVGPRsForWavesPerEU: 24
; NamedBarCnt: 0
; Occupancy: 16
; WaveLimiterHint : 0
; COMPUTE_PGM_RSRC2:SCRATCH_EN: 0
; COMPUTE_PGM_RSRC2:USER_SGPR: 2
; COMPUTE_PGM_RSRC2:TRAP_HANDLER: 0
; COMPUTE_PGM_RSRC2:TGID_X_EN: 1
; COMPUTE_PGM_RSRC2:TGID_Y_EN: 0
; COMPUTE_PGM_RSRC2:TGID_Z_EN: 0
; COMPUTE_PGM_RSRC2:TIDIG_COMP_CNT: 0
	.section	.text._Z33subtract_left_partial_tile_kernelIsss10custom_op1Lj512ELj8EEvPKT_PiPT1_,"axG",@progbits,_Z33subtract_left_partial_tile_kernelIsss10custom_op1Lj512ELj8EEvPKT_PiPT1_,comdat
	.protected	_Z33subtract_left_partial_tile_kernelIsss10custom_op1Lj512ELj8EEvPKT_PiPT1_ ; -- Begin function _Z33subtract_left_partial_tile_kernelIsss10custom_op1Lj512ELj8EEvPKT_PiPT1_
	.globl	_Z33subtract_left_partial_tile_kernelIsss10custom_op1Lj512ELj8EEvPKT_PiPT1_
	.p2align	8
	.type	_Z33subtract_left_partial_tile_kernelIsss10custom_op1Lj512ELj8EEvPKT_PiPT1_,@function
_Z33subtract_left_partial_tile_kernelIsss10custom_op1Lj512ELj8EEvPKT_PiPT1_: ; @_Z33subtract_left_partial_tile_kernelIsss10custom_op1Lj512ELj8EEvPKT_PiPT1_
; %bb.0:
	s_load_b128 s[4:7], s[0:1], 0x0
	s_bfe_u32 s2, ttmp6, 0x4000c
	s_and_b32 s3, ttmp6, 15
	s_add_co_i32 s2, s2, 1
	s_getreg_b32 s8, hwreg(HW_REG_IB_STS2, 6, 4)
	s_mul_i32 s2, ttmp9, s2
	s_mov_b32 s11, 0
	s_add_co_i32 s3, s3, s2
	s_cmp_eq_u32 s8, 0
	s_load_b64 s[8:9], s[0:1], 0x10
	s_cselect_b32 s12, ttmp9, s3
	v_dual_lshlrev_b32 v10, 3, v0 :: v_dual_lshlrev_b32 v1, 1, v0
	s_lshl_b32 s10, s12, 12
	v_cmp_ne_u32_e32 vcc_lo, 0, v0
	s_lshl_b64 s[2:3], s[10:11], 1
	s_bitcmp0_b32 s12, 0
	s_wait_kmcnt 0x0
	s_add_nc_u64 s[0:1], s[4:5], s[2:3]
	global_load_b128 v[2:5], v0, s[0:1] scale_offset
	s_wait_xcnt 0x0
	s_load_b32 s0, s[6:7], s12 offset:0x0 scale_offset
	s_wait_loadcnt 0x0
	v_dual_lshrrev_b32 v11, 16, v2 :: v_dual_lshrrev_b32 v12, 16, v3
	v_dual_lshrrev_b32 v13, 16, v4 :: v_dual_lshrrev_b32 v14, 16, v5
	s_cbranch_scc1 .LBB94_5
; %bb.1:
	s_add_co_i32 s1, s10, -1
	ds_store_b16 v1, v14
	v_mov_b32_e32 v6, s1
	global_load_u16 v6, v6, s[4:5] scale_offset
	s_wait_loadcnt_dscnt 0x0
	s_barrier_signal -1
	s_barrier_wait -1
	s_and_saveexec_b32 s1, vcc_lo
; %bb.2:
	v_add_nc_u32_e32 v6, -2, v1
	ds_load_u16 v6, v6
; %bb.3:
	s_or_b32 exec_lo, exec_lo, s1
	v_sub_nc_u16 v7, v14, v5
	v_or_b32_e32 v8, 7, v10
	v_lshlrev_b32_e32 v9, 16, v14
	v_sub_nc_u16 v18, v13, v4
	v_sub_nc_u16 v16, v5, v13
	v_lshlrev_b32_e32 v7, 16, v7
	s_wait_kmcnt 0x0
	v_cmp_gt_u32_e32 vcc_lo, s0, v8
	v_dual_lshlrev_b32 v8, 16, v13 :: v_dual_bitop2_b32 v15, 6, v10 bitop3:0x54
	v_sub_nc_u16 v19, v4, v12
	v_dual_cndmask_b32 v7, v9, v7, vcc_lo :: v_dual_lshlrev_b32 v9, 16, v18
	v_dual_lshlrev_b32 v21, 16, v11 :: v_dual_bitop2_b32 v17, 5, v10 bitop3:0x54
	s_delay_alu instid0(VALU_DEP_2) | instskip(SKIP_1) | instid1(VALU_DEP_3)
	v_bfi_b32 v18, 0xffff, v5, v7
	v_bfi_b32 v7, 0xffff, v16, v7
	v_cmp_gt_u32_e32 vcc_lo, s0, v17
	v_sub_nc_u16 v16, v12, v3
	v_cndmask_b32_e32 v8, v8, v9, vcc_lo
	v_cmp_gt_u32_e32 vcc_lo, s0, v15
	s_delay_alu instid0(VALU_DEP_3) | instskip(SKIP_1) | instid1(VALU_DEP_4)
	v_dual_lshlrev_b32 v15, 16, v16 :: v_dual_bitop2_b32 v20, 3, v10 bitop3:0x54
	v_or_b32_e32 v16, 4, v10
	v_bfi_b32 v17, 0xffff, v4, v8
	v_dual_cndmask_b32 v9, v18, v7, vcc_lo :: v_dual_lshlrev_b32 v7, 16, v12
	s_delay_alu instid0(VALU_DEP_4)
	v_cmp_gt_u32_e32 vcc_lo, s0, v20
	v_or_b32_e32 v20, 1, v10
	v_bfi_b32 v8, 0xffff, v19, v8
	v_or_b32_e32 v18, 2, v10
	v_sub_nc_u16 v19, v3, v11
	v_cndmask_b32_e32 v7, v7, v15, vcc_lo
	v_sub_nc_u16 v15, v11, v2
	v_cmp_gt_u32_e32 vcc_lo, s0, v10
	s_delay_alu instid0(VALU_DEP_3) | instskip(SKIP_1) | instid1(VALU_DEP_3)
	v_bfi_b32 v22, 0xffff, v3, v7
	s_wait_dscnt 0x0
	v_dual_cndmask_b32 v6, 0, v6 :: v_dual_lshlrev_b32 v15, 16, v15
	v_cmp_gt_u32_e32 vcc_lo, s0, v20
	v_bfi_b32 v7, 0xffff, v19, v7
	s_delay_alu instid0(VALU_DEP_3) | instskip(NEXT) | instid1(VALU_DEP_4)
	v_sub_nc_u16 v6, v2, v6
	v_cndmask_b32_e32 v15, v21, v15, vcc_lo
	v_cmp_gt_u32_e32 vcc_lo, s0, v16
	s_delay_alu instid0(VALU_DEP_2)
	v_bfi_b32 v6, 0xffff, v6, v15
	v_cndmask_b32_e32 v8, v17, v8, vcc_lo
	v_cmp_gt_u32_e32 vcc_lo, s0, v18
	v_cndmask_b32_e32 v7, v22, v7, vcc_lo
.LBB94_4:
	v_lshlrev_b32_e32 v0, 1, v10
	s_wait_kmcnt 0x0
	s_add_nc_u64 s[0:1], s[8:9], s[2:3]
	global_store_b128 v0, v[6:9], s[0:1]
	s_endpgm
.LBB94_5:
                                        ; implicit-def: $vgpr6_vgpr7_vgpr8_vgpr9
	s_cbranch_execz .LBB94_4
; %bb.6:
	s_delay_alu instid0(VALU_DEP_1)
	v_sub_nc_u16 v6, v14, v5
	v_or_b32_e32 v7, 7, v10
	v_sub_nc_u16 v15, v13, v4
	v_lshlrev_b32_e32 v8, 16, v14
	ds_store_b16 v1, v14
	v_or_b32_e32 v9, 6, v10
	s_wait_kmcnt 0x0
	v_cmp_gt_u32_e32 vcc_lo, s0, v7
	v_dual_lshlrev_b32 v15, 16, v15 :: v_dual_bitop2_b32 v7, 5, v10 bitop3:0x54
	v_lshlrev_b32_e32 v6, 16, v6
	v_sub_nc_u16 v14, v5, v13
	s_wait_dscnt 0x0
	s_barrier_signal -1
	s_barrier_wait -1
	v_dual_cndmask_b32 v6, v8, v6, vcc_lo :: v_dual_lshlrev_b32 v8, 16, v13
	v_cmp_gt_u32_e32 vcc_lo, s0, v7
	v_or_b32_e32 v13, 3, v10
	s_delay_alu instid0(VALU_DEP_3)
	v_bfi_b32 v5, 0xffff, v5, v6
	v_bfi_b32 v6, 0xffff, v14, v6
	v_sub_nc_u16 v14, v12, v3
	v_cndmask_b32_e32 v7, v8, v15, vcc_lo
	v_cmp_gt_u32_e32 vcc_lo, s0, v9
	v_sub_nc_u16 v8, v4, v12
	s_delay_alu instid0(VALU_DEP_3)
	v_bfi_b32 v4, 0xffff, v4, v7
	v_dual_cndmask_b32 v9, v5, v6, vcc_lo :: v_dual_lshlrev_b32 v5, 16, v12
	v_lshlrev_b32_e32 v6, 16, v14
	v_or_b32_e32 v12, 4, v10
	v_cmp_gt_u32_e32 vcc_lo, s0, v13
	v_or_b32_e32 v14, 1, v10
	v_sub_nc_u16 v13, v3, v11
	v_cndmask_b32_e32 v5, v5, v6, vcc_lo
	v_bfi_b32 v6, 0xffff, v8, v7
	v_sub_nc_u16 v8, v11, v2
	v_cmp_gt_u32_e32 vcc_lo, s0, v12
	v_dual_lshlrev_b32 v11, 16, v11 :: v_dual_bitop2_b32 v7, 2, v10 bitop3:0x54
	v_bfi_b32 v3, 0xffff, v3, v5
	s_delay_alu instid0(VALU_DEP_4) | instskip(SKIP_2) | instid1(VALU_DEP_3)
	v_dual_cndmask_b32 v8, v4, v6 :: v_dual_lshlrev_b32 v15, 16, v8
	v_cmp_gt_u32_e32 vcc_lo, s0, v14
	v_bfi_b32 v5, 0xffff, v13, v5
	v_cndmask_b32_e32 v4, v11, v15, vcc_lo
	v_cmp_gt_u32_e32 vcc_lo, s0, v7
	v_cmp_gt_u32_e64 s0, s0, v10
	s_delay_alu instid0(VALU_DEP_3) | instskip(SKIP_3) | instid1(SALU_CYCLE_1)
	v_bfi_b32 v6, 0xffff, v2, v4
	v_cndmask_b32_e32 v7, v3, v5, vcc_lo
	v_cmp_ne_u32_e32 vcc_lo, 0, v0
	s_and_b32 s1, vcc_lo, s0
	s_and_saveexec_b32 s0, s1
	s_cbranch_execz .LBB94_8
; %bb.7:
	v_add_nc_u32_e32 v0, -2, v1
	ds_load_u16 v0, v0
	s_wait_dscnt 0x0
	v_sub_nc_u16 v0, v2, v0
	s_delay_alu instid0(VALU_DEP_1)
	v_bfi_b32 v6, 0xffff, v0, v6
.LBB94_8:
	s_or_b32 exec_lo, exec_lo, s0
	v_lshlrev_b32_e32 v0, 1, v10
	s_add_nc_u64 s[0:1], s[8:9], s[2:3]
	global_store_b128 v0, v[6:9], s[0:1]
	s_endpgm
	.section	.rodata,"a",@progbits
	.p2align	6, 0x0
	.amdhsa_kernel _Z33subtract_left_partial_tile_kernelIsss10custom_op1Lj512ELj8EEvPKT_PiPT1_
		.amdhsa_group_segment_fixed_size 2048
		.amdhsa_private_segment_fixed_size 0
		.amdhsa_kernarg_size 24
		.amdhsa_user_sgpr_count 2
		.amdhsa_user_sgpr_dispatch_ptr 0
		.amdhsa_user_sgpr_queue_ptr 0
		.amdhsa_user_sgpr_kernarg_segment_ptr 1
		.amdhsa_user_sgpr_dispatch_id 0
		.amdhsa_user_sgpr_kernarg_preload_length 0
		.amdhsa_user_sgpr_kernarg_preload_offset 0
		.amdhsa_user_sgpr_private_segment_size 0
		.amdhsa_wavefront_size32 1
		.amdhsa_uses_dynamic_stack 0
		.amdhsa_enable_private_segment 0
		.amdhsa_system_sgpr_workgroup_id_x 1
		.amdhsa_system_sgpr_workgroup_id_y 0
		.amdhsa_system_sgpr_workgroup_id_z 0
		.amdhsa_system_sgpr_workgroup_info 0
		.amdhsa_system_vgpr_workitem_id 0
		.amdhsa_next_free_vgpr 23
		.amdhsa_next_free_sgpr 13
		.amdhsa_named_barrier_count 0
		.amdhsa_reserve_vcc 1
		.amdhsa_float_round_mode_32 0
		.amdhsa_float_round_mode_16_64 0
		.amdhsa_float_denorm_mode_32 3
		.amdhsa_float_denorm_mode_16_64 3
		.amdhsa_fp16_overflow 0
		.amdhsa_memory_ordered 1
		.amdhsa_forward_progress 1
		.amdhsa_inst_pref_size 8
		.amdhsa_round_robin_scheduling 0
		.amdhsa_exception_fp_ieee_invalid_op 0
		.amdhsa_exception_fp_denorm_src 0
		.amdhsa_exception_fp_ieee_div_zero 0
		.amdhsa_exception_fp_ieee_overflow 0
		.amdhsa_exception_fp_ieee_underflow 0
		.amdhsa_exception_fp_ieee_inexact 0
		.amdhsa_exception_int_div_zero 0
	.end_amdhsa_kernel
	.section	.text._Z33subtract_left_partial_tile_kernelIsss10custom_op1Lj512ELj8EEvPKT_PiPT1_,"axG",@progbits,_Z33subtract_left_partial_tile_kernelIsss10custom_op1Lj512ELj8EEvPKT_PiPT1_,comdat
.Lfunc_end94:
	.size	_Z33subtract_left_partial_tile_kernelIsss10custom_op1Lj512ELj8EEvPKT_PiPT1_, .Lfunc_end94-_Z33subtract_left_partial_tile_kernelIsss10custom_op1Lj512ELj8EEvPKT_PiPT1_
                                        ; -- End function
	.set _Z33subtract_left_partial_tile_kernelIsss10custom_op1Lj512ELj8EEvPKT_PiPT1_.num_vgpr, 23
	.set _Z33subtract_left_partial_tile_kernelIsss10custom_op1Lj512ELj8EEvPKT_PiPT1_.num_agpr, 0
	.set _Z33subtract_left_partial_tile_kernelIsss10custom_op1Lj512ELj8EEvPKT_PiPT1_.numbered_sgpr, 13
	.set _Z33subtract_left_partial_tile_kernelIsss10custom_op1Lj512ELj8EEvPKT_PiPT1_.num_named_barrier, 0
	.set _Z33subtract_left_partial_tile_kernelIsss10custom_op1Lj512ELj8EEvPKT_PiPT1_.private_seg_size, 0
	.set _Z33subtract_left_partial_tile_kernelIsss10custom_op1Lj512ELj8EEvPKT_PiPT1_.uses_vcc, 1
	.set _Z33subtract_left_partial_tile_kernelIsss10custom_op1Lj512ELj8EEvPKT_PiPT1_.uses_flat_scratch, 0
	.set _Z33subtract_left_partial_tile_kernelIsss10custom_op1Lj512ELj8EEvPKT_PiPT1_.has_dyn_sized_stack, 0
	.set _Z33subtract_left_partial_tile_kernelIsss10custom_op1Lj512ELj8EEvPKT_PiPT1_.has_recursion, 0
	.set _Z33subtract_left_partial_tile_kernelIsss10custom_op1Lj512ELj8EEvPKT_PiPT1_.has_indirect_call, 0
	.section	.AMDGPU.csdata,"",@progbits
; Kernel info:
; codeLenInByte = 972
; TotalNumSgprs: 15
; NumVgprs: 23
; ScratchSize: 0
; MemoryBound: 0
; FloatMode: 240
; IeeeMode: 1
; LDSByteSize: 2048 bytes/workgroup (compile time only)
; SGPRBlocks: 0
; VGPRBlocks: 1
; NumSGPRsForWavesPerEU: 15
; NumVGPRsForWavesPerEU: 23
; NamedBarCnt: 0
; Occupancy: 16
; WaveLimiterHint : 0
; COMPUTE_PGM_RSRC2:SCRATCH_EN: 0
; COMPUTE_PGM_RSRC2:USER_SGPR: 2
; COMPUTE_PGM_RSRC2:TRAP_HANDLER: 0
; COMPUTE_PGM_RSRC2:TGID_X_EN: 1
; COMPUTE_PGM_RSRC2:TGID_Y_EN: 0
; COMPUTE_PGM_RSRC2:TGID_Z_EN: 0
; COMPUTE_PGM_RSRC2:TIDIG_COMP_CNT: 0
	.section	.text._Z33subtract_left_partial_tile_kernelIthhN6hipcub3SumELj256ELj7EEvPKT_PiPT1_,"axG",@progbits,_Z33subtract_left_partial_tile_kernelIthhN6hipcub3SumELj256ELj7EEvPKT_PiPT1_,comdat
	.protected	_Z33subtract_left_partial_tile_kernelIthhN6hipcub3SumELj256ELj7EEvPKT_PiPT1_ ; -- Begin function _Z33subtract_left_partial_tile_kernelIthhN6hipcub3SumELj256ELj7EEvPKT_PiPT1_
	.globl	_Z33subtract_left_partial_tile_kernelIthhN6hipcub3SumELj256ELj7EEvPKT_PiPT1_
	.p2align	8
	.type	_Z33subtract_left_partial_tile_kernelIthhN6hipcub3SumELj256ELj7EEvPKT_PiPT1_,@function
_Z33subtract_left_partial_tile_kernelIthhN6hipcub3SumELj256ELj7EEvPKT_PiPT1_: ; @_Z33subtract_left_partial_tile_kernelIthhN6hipcub3SumELj256ELj7EEvPKT_PiPT1_
; %bb.0:
	s_load_b128 s[4:7], s[0:1], 0x0
	s_bfe_u32 s2, ttmp6, 0x4000c
	s_and_b32 s3, ttmp6, 15
	s_add_co_i32 s2, s2, 1
	s_getreg_b32 s8, hwreg(HW_REG_IB_STS2, 6, 4)
	s_mul_i32 s2, ttmp9, s2
	v_mul_u32_u24_e32 v6, 7, v0
	s_add_co_i32 s3, s3, s2
	s_cmp_eq_u32 s8, 0
	s_load_b64 s[8:9], s[0:1], 0x10
	s_cselect_b32 s12, ttmp9, s3
	s_mov_b32 s3, 0
	s_mul_i32 s2, s12, 0x700
	v_dual_lshlrev_b32 v1, 1, v6 :: v_dual_mov_b32 v7, 0
	s_lshl_b64 s[10:11], s[2:3], 1
	s_bitcmp0_b32 s12, 0
	v_cmp_ne_u32_e32 vcc_lo, 0, v0
	s_wait_kmcnt 0x0
	s_add_nc_u64 s[0:1], s[4:5], s[10:11]
	s_clause 0x1
	global_load_b96 v[2:4], v1, s[0:1]
	global_load_u16 v5, v6, s[0:1] offset:12 scale_offset
	s_wait_xcnt 0x0
	s_load_b32 s0, s[6:7], s12 offset:0x0 scale_offset
	s_wait_loadcnt 0x1
	v_dual_lshlrev_b32 v1, 1, v0 :: v_dual_lshrrev_b32 v10, 16, v2
	v_dual_lshrrev_b32 v11, 16, v3 :: v_dual_lshrrev_b32 v12, 16, v4
	s_cbranch_scc1 .LBB95_4
; %bb.1:
	s_add_co_i32 s1, s2, -1
	s_wait_loadcnt 0x0
	ds_store_b16 v1, v5
	v_mov_b32_e32 v8, s1
	global_load_u16 v8, v8, s[4:5] scale_offset
	s_wait_loadcnt_dscnt 0x0
	s_barrier_signal -1
	s_barrier_wait -1
	s_and_saveexec_b32 s1, vcc_lo
; %bb.2:
	v_add_nc_u32_e32 v8, -2, v1
	ds_load_u16 v8, v8
; %bb.3:
	s_or_b32 exec_lo, exec_lo, s1
	v_add_nc_u16 v15, v11, v3
	v_perm_b32 v18, 0, v11, 0xc0c0006
	v_add_nc_u16 v16, v12, v4
	v_add_nc_u16 v14, v5, v12
	v_lshlrev_b16 v19, 8, v12
	v_lshlrev_b16 v15, 8, v15
	v_add_nc_u32_e32 v17, 3, v6
	v_lshlrev_b16 v16, 8, v16
	v_and_b32_e32 v9, 0xff, v5
	v_add_nc_u32_e32 v13, 6, v6
	v_and_b32_e32 v14, 0xff, v14
	s_wait_kmcnt 0x0
	v_cmp_gt_u32_e32 vcc_lo, s0, v17
	v_and_b32_e32 v16, 0xffff, v16
	v_lshlrev_b32_e32 v9, 16, v9
	s_wait_dscnt 0x0
	v_add_nc_u16 v8, v8, v2
	v_dual_cndmask_b32 v15, v18, v15, vcc_lo :: v_dual_add_nc_u32 v17, 5, v6
	v_and_b32_e32 v18, 0xffff, v19
	v_add_nc_u16 v19, v3, v10
	s_delay_alu instid0(VALU_DEP_3) | instskip(NEXT) | instid1(VALU_DEP_4)
	v_lshlrev_b32_e32 v15, 16, v15
	v_cmp_gt_u32_e32 vcc_lo, s0, v17
	s_delay_alu instid0(VALU_DEP_4) | instskip(NEXT) | instid1(VALU_DEP_3)
	v_dual_lshlrev_b32 v14, 16, v14 :: v_dual_cndmask_b32 v16, v18, v16, vcc_lo
	v_perm_b32 v18, v3, v15, 0xc0c0304
	v_perm_b32 v15, v19, v15, 0xc0c0304
	v_add_nc_u32_e32 v17, 2, v6
	v_cmp_gt_u32_e32 vcc_lo, s0, v13
	v_and_b32_e32 v13, 0xffffff00, v16
	v_add_nc_u16 v16, v10, v2
	v_add_nc_u32_e32 v19, 1, v6
	v_cndmask_b32_e32 v9, v9, v14, vcc_lo
	v_add_nc_u16 v14, v4, v11
	v_cmp_gt_u32_e32 vcc_lo, s0, v17
	v_bitop3_b16 v17, v4, v13, 0xff bitop3:0xec
	v_lshlrev_b16 v16, 8, v16
	s_delay_alu instid0(VALU_DEP_4) | instskip(SKIP_1) | instid1(VALU_DEP_4)
	v_bitop3_b16 v13, v14, v13, 0xff bitop3:0xec
	v_dual_cndmask_b32 v15, v18, v15 :: v_dual_add_nc_u32 v14, 4, v6
	v_and_b32_e32 v17, 0xffff, v17
	s_delay_alu instid0(VALU_DEP_4) | instskip(NEXT) | instid1(VALU_DEP_4)
	v_and_b32_e32 v16, 0xffff, v16
	v_and_b32_e32 v13, 0xffff, v13
	s_delay_alu instid0(VALU_DEP_4) | instskip(SKIP_1) | instid1(VALU_DEP_2)
	v_lshlrev_b32_e32 v18, 16, v15
	v_cmp_gt_u32_e32 vcc_lo, s0, v14
	v_perm_b32 v20, v18, v10, 0xc0c0004
	s_delay_alu instid0(VALU_DEP_4) | instskip(SKIP_1) | instid1(VALU_DEP_2)
	v_cndmask_b32_e32 v13, v17, v13, vcc_lo
	v_cmp_gt_u32_e32 vcc_lo, s0, v19
	v_dual_cndmask_b32 v14, v20, v16, vcc_lo :: v_dual_bitop2_b32 v16, v13, v9 bitop3:0x54
	v_cmp_gt_u32_e32 vcc_lo, s0, v6
	v_bfe_u32 v9, v9, 16, 8
	s_delay_alu instid0(VALU_DEP_3) | instskip(NEXT) | instid1(VALU_DEP_1)
	v_dual_lshrrev_b32 v16, 8, v16 :: v_dual_bitop2_b32 v14, v14, v18 bitop3:0x54
	v_perm_b32 v17, v2, v14, 0xc0c0104
	v_perm_b32 v8, v8, v14, 0xc0c0104
	s_delay_alu instid0(VALU_DEP_3) | instskip(NEXT) | instid1(VALU_DEP_2)
	v_lshlrev_b16 v16, 8, v16
	v_cndmask_b32_e32 v8, v17, v8, vcc_lo
	s_delay_alu instid0(VALU_DEP_2) | instskip(NEXT) | instid1(VALU_DEP_2)
	v_bitop3_b16 v13, v13, v16, 0xff bitop3:0xec
	v_and_or_b32 v8, 0xffff0000, v14, v8
	s_delay_alu instid0(VALU_DEP_2) | instskip(NEXT) | instid1(VALU_DEP_2)
	v_and_b32_e32 v13, 0xffff, v13
	v_perm_b32 v8, v8, v15, 0x7000504
	s_delay_alu instid0(VALU_DEP_2)
	v_lshl_or_b32 v9, v9, 16, v13
	s_branch .LBB95_8
.LBB95_4:
                                        ; implicit-def: $vgpr8_vgpr9
	s_cbranch_execz .LBB95_8
; %bb.5:
	s_delay_alu instid0(VALU_DEP_1)
	v_add_nc_u16 v9, v12, v4
	s_wait_loadcnt 0x0
	v_add_nc_u16 v13, v5, v12
	v_lshlrev_b16 v12, 8, v12
	v_dual_add_nc_u32 v15, 5, v6 :: v_dual_add_nc_u32 v17, 3, v6
	v_lshlrev_b16 v9, 8, v9
	v_add_nc_u16 v16, v11, v3
	s_delay_alu instid0(VALU_DEP_4)
	v_and_b32_e32 v12, 0xffff, v12
	s_wait_kmcnt 0x0
	v_cmp_gt_u32_e32 vcc_lo, s0, v15
	v_and_b32_e32 v8, 0xff, v5
	v_and_b32_e32 v9, 0xffff, v9
	v_add_nc_u32_e32 v14, 6, v6
	v_and_b32_e32 v13, 0xff, v13
	v_perm_b32 v18, 0, v11, 0xc0c0006
	v_lshlrev_b16 v16, 8, v16
	v_cndmask_b32_e32 v9, v12, v9, vcc_lo
	v_cmp_gt_u32_e32 vcc_lo, s0, v17
	v_dual_lshlrev_b32 v8, 16, v8 :: v_dual_lshlrev_b32 v12, 16, v13
	v_add_nc_u16 v11, v4, v11
	ds_store_b16 v1, v5
	v_cndmask_b32_e32 v13, v18, v16, vcc_lo
	v_and_b32_e32 v9, 0xffffff00, v9
	v_cmp_gt_u32_e32 vcc_lo, s0, v14
	s_wait_dscnt 0x0
	s_barrier_signal -1
	s_barrier_wait -1
	v_bitop3_b16 v11, v11, v9, 0xff bitop3:0xec
	v_bitop3_b16 v4, v4, v9, 0xff bitop3:0xec
	v_dual_cndmask_b32 v8, v8, v12 :: v_dual_add_nc_u32 v9, 4, v6
	v_lshlrev_b32_e32 v12, 16, v13
	v_add_nc_u16 v13, v3, v10
	s_delay_alu instid0(VALU_DEP_4) | instskip(SKIP_1) | instid1(VALU_DEP_4)
	v_and_b32_e32 v4, 0xffff, v4
	v_and_b32_e32 v11, 0xffff, v11
	v_perm_b32 v3, v3, v12, 0xc0c0304
	s_delay_alu instid0(VALU_DEP_4) | instskip(SKIP_2) | instid1(VALU_DEP_2)
	v_perm_b32 v12, v13, v12, 0xc0c0304
	v_add_nc_u32_e32 v14, 2, v6
	v_add_nc_u16 v13, v10, v2
	v_cmp_gt_u32_e32 vcc_lo, s0, v14
	s_delay_alu instid0(VALU_DEP_4) | instskip(SKIP_1) | instid1(VALU_DEP_4)
	v_cndmask_b32_e32 v3, v3, v12, vcc_lo
	v_cmp_gt_u32_e32 vcc_lo, s0, v9
	v_lshlrev_b16 v9, 8, v13
	v_dual_cndmask_b32 v4, v4, v11 :: v_dual_add_nc_u32 v13, 1, v6
	s_delay_alu instid0(VALU_DEP_4) | instskip(NEXT) | instid1(VALU_DEP_3)
	v_lshlrev_b32_e32 v11, 16, v3
	v_and_b32_e32 v9, 0xffff, v9
	s_delay_alu instid0(VALU_DEP_3) | instskip(SKIP_3) | instid1(VALU_DEP_1)
	v_cmp_gt_u32_e32 vcc_lo, s0, v13
	v_cmp_gt_u32_e64 s0, s0, v6
	v_or_b32_e32 v12, v4, v8
	v_perm_b32 v10, v11, v10, 0xc0c0004
	v_dual_cndmask_b32 v9, v10, v9 :: v_dual_lshrrev_b32 v12, 8, v12
	v_cmp_ne_u32_e32 vcc_lo, 0, v0
	s_delay_alu instid0(VALU_DEP_2) | instskip(NEXT) | instid1(VALU_DEP_3)
	v_lshlrev_b16 v10, 8, v12
	v_or_b32_e32 v9, v9, v11
	s_and_b32 s1, vcc_lo, s0
	s_delay_alu instid0(VALU_DEP_2) | instskip(NEXT) | instid1(VALU_DEP_2)
	v_bitop3_b16 v4, v4, v10, 0xff bitop3:0xec
	v_perm_b32 v5, v2, v9, 0xc0c0104
	v_perm_b32 v3, v3, v9, 0xc0c0304
	v_bfe_u32 v9, v8, 16, 8
	s_delay_alu instid0(VALU_DEP_4) | instskip(NEXT) | instid1(VALU_DEP_3)
	v_and_b32_e32 v4, 0xffff, v4
	v_lshl_or_b32 v8, v3, 16, v5
	s_delay_alu instid0(VALU_DEP_2)
	v_lshl_or_b32 v9, v9, 16, v4
	s_and_saveexec_b32 s0, s1
	s_cbranch_execz .LBB95_7
; %bb.6:
	v_add_nc_u32_e32 v0, -2, v1
	s_delay_alu instid0(VALU_DEP_2) | instskip(SKIP_3) | instid1(VALU_DEP_1)
	v_lshrrev_b32_e32 v1, 8, v9
	v_bfe_u32 v3, v9, 16, 8
	ds_load_u8 v0, v0
	v_lshlrev_b16 v1, 8, v1
	v_bitop3_b16 v1, v9, v1, 0xff bitop3:0xec
	s_delay_alu instid0(VALU_DEP_1) | instskip(NEXT) | instid1(VALU_DEP_1)
	v_and_b32_e32 v1, 0xffff, v1
	v_lshl_or_b32 v9, v3, 16, v1
	s_wait_dscnt 0x0
	v_add_nc_u16 v0, v0, v2
	s_delay_alu instid0(VALU_DEP_1)
	v_perm_b32 v8, v0, v8, 0x3020104
.LBB95_7:
	s_or_b32 exec_lo, exec_lo, s0
.LBB95_8:
	s_delay_alu instid0(VALU_DEP_1) | instskip(SKIP_3) | instid1(VALU_DEP_2)
	v_lshrrev_b32_e32 v0, 8, v9
	s_wait_kmcnt 0x0
	s_add_nc_u64 s[0:1], s[8:9], s[2:3]
	v_perm_b32 v3, v8, v8, 0x3020104
	v_lshlrev_b16 v2, 8, v0
	v_add_nc_u64_e32 v[0:1], s[0:1], v[6:7]
	s_delay_alu instid0(VALU_DEP_2)
	v_bitop3_b16 v2, v9, v2, 0xff bitop3:0xec
	s_clause 0x2
	global_store_b32 v[0:1], v3, off
	global_store_d16_hi_b8 v[0:1], v9, off offset:6
	global_store_b16 v[0:1], v2, off offset:4
	s_endpgm
	.section	.rodata,"a",@progbits
	.p2align	6, 0x0
	.amdhsa_kernel _Z33subtract_left_partial_tile_kernelIthhN6hipcub3SumELj256ELj7EEvPKT_PiPT1_
		.amdhsa_group_segment_fixed_size 1024
		.amdhsa_private_segment_fixed_size 0
		.amdhsa_kernarg_size 24
		.amdhsa_user_sgpr_count 2
		.amdhsa_user_sgpr_dispatch_ptr 0
		.amdhsa_user_sgpr_queue_ptr 0
		.amdhsa_user_sgpr_kernarg_segment_ptr 1
		.amdhsa_user_sgpr_dispatch_id 0
		.amdhsa_user_sgpr_kernarg_preload_length 0
		.amdhsa_user_sgpr_kernarg_preload_offset 0
		.amdhsa_user_sgpr_private_segment_size 0
		.amdhsa_wavefront_size32 1
		.amdhsa_uses_dynamic_stack 0
		.amdhsa_enable_private_segment 0
		.amdhsa_system_sgpr_workgroup_id_x 1
		.amdhsa_system_sgpr_workgroup_id_y 0
		.amdhsa_system_sgpr_workgroup_id_z 0
		.amdhsa_system_sgpr_workgroup_info 0
		.amdhsa_system_vgpr_workitem_id 0
		.amdhsa_next_free_vgpr 21
		.amdhsa_next_free_sgpr 13
		.amdhsa_named_barrier_count 0
		.amdhsa_reserve_vcc 1
		.amdhsa_float_round_mode_32 0
		.amdhsa_float_round_mode_16_64 0
		.amdhsa_float_denorm_mode_32 3
		.amdhsa_float_denorm_mode_16_64 3
		.amdhsa_fp16_overflow 0
		.amdhsa_memory_ordered 1
		.amdhsa_forward_progress 1
		.amdhsa_inst_pref_size 12
		.amdhsa_round_robin_scheduling 0
		.amdhsa_exception_fp_ieee_invalid_op 0
		.amdhsa_exception_fp_denorm_src 0
		.amdhsa_exception_fp_ieee_div_zero 0
		.amdhsa_exception_fp_ieee_overflow 0
		.amdhsa_exception_fp_ieee_underflow 0
		.amdhsa_exception_fp_ieee_inexact 0
		.amdhsa_exception_int_div_zero 0
	.end_amdhsa_kernel
	.section	.text._Z33subtract_left_partial_tile_kernelIthhN6hipcub3SumELj256ELj7EEvPKT_PiPT1_,"axG",@progbits,_Z33subtract_left_partial_tile_kernelIthhN6hipcub3SumELj256ELj7EEvPKT_PiPT1_,comdat
.Lfunc_end95:
	.size	_Z33subtract_left_partial_tile_kernelIthhN6hipcub3SumELj256ELj7EEvPKT_PiPT1_, .Lfunc_end95-_Z33subtract_left_partial_tile_kernelIthhN6hipcub3SumELj256ELj7EEvPKT_PiPT1_
                                        ; -- End function
	.set _Z33subtract_left_partial_tile_kernelIthhN6hipcub3SumELj256ELj7EEvPKT_PiPT1_.num_vgpr, 21
	.set _Z33subtract_left_partial_tile_kernelIthhN6hipcub3SumELj256ELj7EEvPKT_PiPT1_.num_agpr, 0
	.set _Z33subtract_left_partial_tile_kernelIthhN6hipcub3SumELj256ELj7EEvPKT_PiPT1_.numbered_sgpr, 13
	.set _Z33subtract_left_partial_tile_kernelIthhN6hipcub3SumELj256ELj7EEvPKT_PiPT1_.num_named_barrier, 0
	.set _Z33subtract_left_partial_tile_kernelIthhN6hipcub3SumELj256ELj7EEvPKT_PiPT1_.private_seg_size, 0
	.set _Z33subtract_left_partial_tile_kernelIthhN6hipcub3SumELj256ELj7EEvPKT_PiPT1_.uses_vcc, 1
	.set _Z33subtract_left_partial_tile_kernelIthhN6hipcub3SumELj256ELj7EEvPKT_PiPT1_.uses_flat_scratch, 0
	.set _Z33subtract_left_partial_tile_kernelIthhN6hipcub3SumELj256ELj7EEvPKT_PiPT1_.has_dyn_sized_stack, 0
	.set _Z33subtract_left_partial_tile_kernelIthhN6hipcub3SumELj256ELj7EEvPKT_PiPT1_.has_recursion, 0
	.set _Z33subtract_left_partial_tile_kernelIthhN6hipcub3SumELj256ELj7EEvPKT_PiPT1_.has_indirect_call, 0
	.section	.AMDGPU.csdata,"",@progbits
; Kernel info:
; codeLenInByte = 1432
; TotalNumSgprs: 15
; NumVgprs: 21
; ScratchSize: 0
; MemoryBound: 0
; FloatMode: 240
; IeeeMode: 1
; LDSByteSize: 1024 bytes/workgroup (compile time only)
; SGPRBlocks: 0
; VGPRBlocks: 1
; NumSGPRsForWavesPerEU: 15
; NumVGPRsForWavesPerEU: 21
; NamedBarCnt: 0
; Occupancy: 16
; WaveLimiterHint : 0
; COMPUTE_PGM_RSRC2:SCRATCH_EN: 0
; COMPUTE_PGM_RSRC2:USER_SGPR: 2
; COMPUTE_PGM_RSRC2:TRAP_HANDLER: 0
; COMPUTE_PGM_RSRC2:TGID_X_EN: 1
; COMPUTE_PGM_RSRC2:TGID_Y_EN: 0
; COMPUTE_PGM_RSRC2:TGID_Z_EN: 0
; COMPUTE_PGM_RSRC2:TIDIG_COMP_CNT: 0
	.section	.text._Z33subtract_left_partial_tile_kernelIiss10custom_op2Lj128ELj4EEvPKT_PiPT1_,"axG",@progbits,_Z33subtract_left_partial_tile_kernelIiss10custom_op2Lj128ELj4EEvPKT_PiPT1_,comdat
	.protected	_Z33subtract_left_partial_tile_kernelIiss10custom_op2Lj128ELj4EEvPKT_PiPT1_ ; -- Begin function _Z33subtract_left_partial_tile_kernelIiss10custom_op2Lj128ELj4EEvPKT_PiPT1_
	.globl	_Z33subtract_left_partial_tile_kernelIiss10custom_op2Lj128ELj4EEvPKT_PiPT1_
	.p2align	8
	.type	_Z33subtract_left_partial_tile_kernelIiss10custom_op2Lj128ELj4EEvPKT_PiPT1_,@function
_Z33subtract_left_partial_tile_kernelIiss10custom_op2Lj128ELj4EEvPKT_PiPT1_: ; @_Z33subtract_left_partial_tile_kernelIiss10custom_op2Lj128ELj4EEvPKT_PiPT1_
; %bb.0:
	s_load_b128 s[4:7], s[0:1], 0x0
	s_bfe_u32 s2, ttmp6, 0x4000c
	s_and_b32 s3, ttmp6, 15
	s_add_co_i32 s2, s2, 1
	s_getreg_b32 s8, hwreg(HW_REG_IB_STS2, 6, 4)
	s_mul_i32 s2, ttmp9, s2
	v_lshlrev_b32_e32 v6, 2, v0
	s_add_co_i32 s3, s3, s2
	s_cmp_eq_u32 s8, 0
	s_load_b64 s[8:9], s[0:1], 0x10
	s_cselect_b32 s12, ttmp9, s3
	s_mov_b32 s3, 0
	s_lshl_b32 s2, s12, 9
	v_cmp_ne_u32_e32 vcc_lo, 0, v0
	s_lshl_b64 s[10:11], s[2:3], 2
	s_bitcmp0_b32 s12, 0
	s_wait_kmcnt 0x0
	s_add_nc_u64 s[0:1], s[4:5], s[10:11]
	global_load_b128 v[2:5], v0, s[0:1] scale_offset
	s_wait_xcnt 0x0
	s_load_b32 s1, s[6:7], s12 offset:0x0 scale_offset
	s_cbranch_scc1 .LBB96_4
; %bb.1:
	s_add_co_i32 s0, s2, -1
	s_wait_loadcnt 0x0
	ds_store_b32 v6, v5
	s_load_b32 s0, s[4:5], s0 offset:0x0 scale_offset
	s_wait_dscnt 0x0
	s_barrier_signal -1
	s_barrier_wait -1
	s_wait_kmcnt 0x0
	v_mov_b32_e32 v1, s0
	s_and_saveexec_b32 s0, vcc_lo
; %bb.2:
	v_add_nc_u32_e32 v1, -4, v6
	ds_load_b32 v1, v1
; %bb.3:
	s_or_b32 exec_lo, exec_lo, s0
	v_dual_lshlrev_b32 v7, 1, v4 :: v_dual_bitop2_b32 v8, 3, v6 bitop3:0x54
	v_dual_lshlrev_b32 v9, 16, v5 :: v_dual_bitop2_b32 v10, 2, v6 bitop3:0x54
	s_wait_dscnt 0x0
	v_dual_lshlrev_b32 v12, 1, v2 :: v_dual_lshlrev_b32 v1, 1, v1
	s_delay_alu instid0(VALU_DEP_3) | instskip(SKIP_2) | instid1(VALU_DEP_4)
	v_dual_sub_nc_u32 v7, v7, v5 :: v_dual_lshlrev_b32 v11, 1, v3
	v_or_b32_e32 v13, 1, v6
	v_cmp_gt_u32_e32 vcc_lo, s1, v8
	v_dual_lshlrev_b32 v14, 16, v3 :: v_dual_sub_nc_u32 v12, v12, v3
	s_delay_alu instid0(VALU_DEP_4) | instskip(SKIP_1) | instid1(VALU_DEP_2)
	v_dual_lshlrev_b32 v7, 16, v7 :: v_dual_sub_nc_u32 v1, v1, v2
	v_sub_nc_u32_e32 v8, v11, v4
	v_dual_cndmask_b32 v7, v9, v7, vcc_lo :: v_dual_lshlrev_b32 v9, 16, v12
	v_cmp_gt_u32_e32 vcc_lo, s1, v6
	s_delay_alu instid0(VALU_DEP_2) | instskip(NEXT) | instid1(VALU_DEP_4)
	v_bfi_b32 v11, 0xffff, v4, v7
	v_bfi_b32 v7, 0xffff, v8, v7
	v_cndmask_b32_e32 v1, v2, v1, vcc_lo
	v_cmp_gt_u32_e32 vcc_lo, s1, v13
	v_cndmask_b32_e32 v8, v14, v9, vcc_lo
	v_cmp_gt_u32_e32 vcc_lo, s1, v10
	v_cndmask_b32_e32 v9, v11, v7, vcc_lo
	s_delay_alu instid0(VALU_DEP_3)
	v_bfi_b32 v8, 0xffff, v1, v8
	s_branch .LBB96_8
.LBB96_4:
                                        ; implicit-def: $vgpr8_vgpr9
	s_cbranch_execz .LBB96_8
; %bb.5:
	s_wait_loadcnt 0x0
	v_dual_lshlrev_b32 v1, 1, v4 :: v_dual_bitop2_b32 v7, 3, v6 bitop3:0x54
	ds_store_b32 v6, v5
	v_dual_lshlrev_b32 v10, 1, v3 :: v_dual_bitop2_b32 v9, 2, v6 bitop3:0x54
	v_dual_sub_nc_u32 v1, v1, v5 :: v_dual_lshlrev_b32 v5, 16, v5
	v_lshlrev_b32_e32 v8, 1, v2
	s_wait_kmcnt 0x0
	v_cmp_gt_u32_e32 vcc_lo, s1, v7
	v_cmp_gt_u32_e64 s0, s1, v6
	v_dual_lshlrev_b32 v1, 16, v1 :: v_dual_bitop2_b32 v11, 1, v6 bitop3:0x54
	v_dual_sub_nc_u32 v8, v8, v3 :: v_dual_lshlrev_b32 v3, 16, v3
	s_wait_dscnt 0x0
	s_delay_alu instid0(VALU_DEP_2) | instskip(NEXT) | instid1(VALU_DEP_2)
	v_dual_cndmask_b32 v1, v5, v1, vcc_lo :: v_dual_sub_nc_u32 v5, v10, v4
	v_lshlrev_b32_e32 v7, 16, v8
	v_cmp_gt_u32_e32 vcc_lo, s1, v11
	v_cmp_gt_u32_e64 s1, s1, v9
	s_delay_alu instid0(VALU_DEP_4)
	v_bfi_b32 v4, 0xffff, v4, v1
	v_bfi_b32 v1, 0xffff, v5, v1
	s_barrier_signal -1
	v_cndmask_b32_e32 v3, v3, v7, vcc_lo
	v_cmp_ne_u32_e32 vcc_lo, 0, v0
	s_barrier_wait -1
	v_cndmask_b32_e64 v9, v4, v1, s1
	s_delay_alu instid0(VALU_DEP_3) | instskip(SKIP_1) | instid1(SALU_CYCLE_1)
	v_bfi_b32 v8, 0xffff, v2, v3
	s_and_b32 s1, vcc_lo, s0
	s_and_saveexec_b32 s0, s1
	s_cbranch_execz .LBB96_7
; %bb.6:
	v_add_nc_u32_e32 v0, -4, v6
	ds_load_b32 v0, v0
	s_wait_dscnt 0x0
	v_lshlrev_b32_e32 v0, 1, v0
	s_delay_alu instid0(VALU_DEP_1) | instskip(NEXT) | instid1(VALU_DEP_1)
	v_sub_nc_u32_e32 v0, v0, v2
	v_bfi_b32 v8, 0xffff, v0, v8
.LBB96_7:
	s_or_b32 exec_lo, exec_lo, s0
.LBB96_8:
	v_lshlrev_b32_e32 v0, 1, v6
	s_wait_kmcnt 0x0
	s_lshl_b64 s[0:1], s[2:3], 1
	s_delay_alu instid0(SALU_CYCLE_1)
	s_add_nc_u64 s[0:1], s[8:9], s[0:1]
	global_store_b64 v0, v[8:9], s[0:1]
	s_endpgm
	.section	.rodata,"a",@progbits
	.p2align	6, 0x0
	.amdhsa_kernel _Z33subtract_left_partial_tile_kernelIiss10custom_op2Lj128ELj4EEvPKT_PiPT1_
		.amdhsa_group_segment_fixed_size 1024
		.amdhsa_private_segment_fixed_size 0
		.amdhsa_kernarg_size 24
		.amdhsa_user_sgpr_count 2
		.amdhsa_user_sgpr_dispatch_ptr 0
		.amdhsa_user_sgpr_queue_ptr 0
		.amdhsa_user_sgpr_kernarg_segment_ptr 1
		.amdhsa_user_sgpr_dispatch_id 0
		.amdhsa_user_sgpr_kernarg_preload_length 0
		.amdhsa_user_sgpr_kernarg_preload_offset 0
		.amdhsa_user_sgpr_private_segment_size 0
		.amdhsa_wavefront_size32 1
		.amdhsa_uses_dynamic_stack 0
		.amdhsa_enable_private_segment 0
		.amdhsa_system_sgpr_workgroup_id_x 1
		.amdhsa_system_sgpr_workgroup_id_y 0
		.amdhsa_system_sgpr_workgroup_id_z 0
		.amdhsa_system_sgpr_workgroup_info 0
		.amdhsa_system_vgpr_workitem_id 0
		.amdhsa_next_free_vgpr 15
		.amdhsa_next_free_sgpr 13
		.amdhsa_named_barrier_count 0
		.amdhsa_reserve_vcc 1
		.amdhsa_float_round_mode_32 0
		.amdhsa_float_round_mode_16_64 0
		.amdhsa_float_denorm_mode_32 3
		.amdhsa_float_denorm_mode_16_64 3
		.amdhsa_fp16_overflow 0
		.amdhsa_memory_ordered 1
		.amdhsa_forward_progress 1
		.amdhsa_inst_pref_size 6
		.amdhsa_round_robin_scheduling 0
		.amdhsa_exception_fp_ieee_invalid_op 0
		.amdhsa_exception_fp_denorm_src 0
		.amdhsa_exception_fp_ieee_div_zero 0
		.amdhsa_exception_fp_ieee_overflow 0
		.amdhsa_exception_fp_ieee_underflow 0
		.amdhsa_exception_fp_ieee_inexact 0
		.amdhsa_exception_int_div_zero 0
	.end_amdhsa_kernel
	.section	.text._Z33subtract_left_partial_tile_kernelIiss10custom_op2Lj128ELj4EEvPKT_PiPT1_,"axG",@progbits,_Z33subtract_left_partial_tile_kernelIiss10custom_op2Lj128ELj4EEvPKT_PiPT1_,comdat
.Lfunc_end96:
	.size	_Z33subtract_left_partial_tile_kernelIiss10custom_op2Lj128ELj4EEvPKT_PiPT1_, .Lfunc_end96-_Z33subtract_left_partial_tile_kernelIiss10custom_op2Lj128ELj4EEvPKT_PiPT1_
                                        ; -- End function
	.set _Z33subtract_left_partial_tile_kernelIiss10custom_op2Lj128ELj4EEvPKT_PiPT1_.num_vgpr, 15
	.set _Z33subtract_left_partial_tile_kernelIiss10custom_op2Lj128ELj4EEvPKT_PiPT1_.num_agpr, 0
	.set _Z33subtract_left_partial_tile_kernelIiss10custom_op2Lj128ELj4EEvPKT_PiPT1_.numbered_sgpr, 13
	.set _Z33subtract_left_partial_tile_kernelIiss10custom_op2Lj128ELj4EEvPKT_PiPT1_.num_named_barrier, 0
	.set _Z33subtract_left_partial_tile_kernelIiss10custom_op2Lj128ELj4EEvPKT_PiPT1_.private_seg_size, 0
	.set _Z33subtract_left_partial_tile_kernelIiss10custom_op2Lj128ELj4EEvPKT_PiPT1_.uses_vcc, 1
	.set _Z33subtract_left_partial_tile_kernelIiss10custom_op2Lj128ELj4EEvPKT_PiPT1_.uses_flat_scratch, 0
	.set _Z33subtract_left_partial_tile_kernelIiss10custom_op2Lj128ELj4EEvPKT_PiPT1_.has_dyn_sized_stack, 0
	.set _Z33subtract_left_partial_tile_kernelIiss10custom_op2Lj128ELj4EEvPKT_PiPT1_.has_recursion, 0
	.set _Z33subtract_left_partial_tile_kernelIiss10custom_op2Lj128ELj4EEvPKT_PiPT1_.has_indirect_call, 0
	.section	.AMDGPU.csdata,"",@progbits
; Kernel info:
; codeLenInByte = 648
; TotalNumSgprs: 15
; NumVgprs: 15
; ScratchSize: 0
; MemoryBound: 0
; FloatMode: 240
; IeeeMode: 1
; LDSByteSize: 1024 bytes/workgroup (compile time only)
; SGPRBlocks: 0
; VGPRBlocks: 0
; NumSGPRsForWavesPerEU: 15
; NumVGPRsForWavesPerEU: 15
; NamedBarCnt: 0
; Occupancy: 16
; WaveLimiterHint : 0
; COMPUTE_PGM_RSRC2:SCRATCH_EN: 0
; COMPUTE_PGM_RSRC2:USER_SGPR: 2
; COMPUTE_PGM_RSRC2:TRAP_HANDLER: 0
; COMPUTE_PGM_RSRC2:TGID_X_EN: 1
; COMPUTE_PGM_RSRC2:TGID_Y_EN: 0
; COMPUTE_PGM_RSRC2:TGID_Z_EN: 0
; COMPUTE_PGM_RSRC2:TIDIG_COMP_CNT: 0
	.section	.text._Z33subtract_left_partial_tile_kernelIicc10custom_op1Lj64ELj2EEvPKT_PiPT1_,"axG",@progbits,_Z33subtract_left_partial_tile_kernelIicc10custom_op1Lj64ELj2EEvPKT_PiPT1_,comdat
	.protected	_Z33subtract_left_partial_tile_kernelIicc10custom_op1Lj64ELj2EEvPKT_PiPT1_ ; -- Begin function _Z33subtract_left_partial_tile_kernelIicc10custom_op1Lj64ELj2EEvPKT_PiPT1_
	.globl	_Z33subtract_left_partial_tile_kernelIicc10custom_op1Lj64ELj2EEvPKT_PiPT1_
	.p2align	8
	.type	_Z33subtract_left_partial_tile_kernelIicc10custom_op1Lj64ELj2EEvPKT_PiPT1_,@function
_Z33subtract_left_partial_tile_kernelIicc10custom_op1Lj64ELj2EEvPKT_PiPT1_: ; @_Z33subtract_left_partial_tile_kernelIicc10custom_op1Lj64ELj2EEvPKT_PiPT1_
; %bb.0:
	s_load_b128 s[4:7], s[0:1], 0x0
	s_bfe_u32 s2, ttmp6, 0x4000c
	s_and_b32 s3, ttmp6, 15
	s_add_co_i32 s2, s2, 1
	s_getreg_b32 s8, hwreg(HW_REG_IB_STS2, 6, 4)
	s_mul_i32 s2, ttmp9, s2
	v_dual_mov_b32 v3, 0 :: v_dual_lshlrev_b32 v2, 1, v0
	s_add_co_i32 s3, s3, s2
	s_cmp_eq_u32 s8, 0
	s_load_b64 s[8:9], s[0:1], 0x10
	s_cselect_b32 s12, ttmp9, s3
	s_mov_b32 s3, 0
	s_lshl_b32 s2, s12, 7
	v_lshlrev_b32_e32 v1, 2, v0
	s_lshl_b64 s[10:11], s[2:3], 2
	s_bitcmp0_b32 s12, 0
	v_cmp_ne_u32_e32 vcc_lo, 0, v0
	s_wait_kmcnt 0x0
	s_add_nc_u64 s[0:1], s[4:5], s[10:11]
	global_load_b64 v[4:5], v0, s[0:1] scale_offset
	s_wait_xcnt 0x0
	s_load_b32 s0, s[6:7], s12 offset:0x0 scale_offset
	s_cbranch_scc1 .LBB97_5
; %bb.1:
	s_add_co_i32 s1, s2, -1
	s_wait_loadcnt 0x0
	ds_store_b32 v1, v5
	s_load_b32 s1, s[4:5], s1 offset:0x0 scale_offset
	s_wait_dscnt 0x0
	s_barrier_signal -1
	s_barrier_wait -1
	s_wait_kmcnt 0x0
	v_mov_b32_e32 v6, s1
	s_and_saveexec_b32 s1, vcc_lo
; %bb.2:
	v_add_nc_u32_e32 v6, -4, v1
	ds_load_b32 v6, v6
; %bb.3:
	s_or_b32 exec_lo, exec_lo, s1
	v_dual_sub_nc_u32 v7, v5, v4 :: v_dual_bitop2_b32 v8, 1, v2 bitop3:0x54
	v_lshlrev_b16 v9, 8, v5
	s_wait_dscnt 0x0
	v_sub_nc_u32_e32 v6, v4, v6
	s_delay_alu instid0(VALU_DEP_3) | instskip(SKIP_1) | instid1(VALU_DEP_2)
	v_lshlrev_b16 v7, 8, v7
	v_cmp_gt_u32_e32 vcc_lo, s0, v8
	v_cndmask_b32_e32 v7, v9, v7, vcc_lo
	v_cmp_gt_u32_e32 vcc_lo, s0, v2
	s_delay_alu instid0(VALU_DEP_2) | instskip(SKIP_1) | instid1(VALU_DEP_1)
	v_bitop3_b16 v8, v4, v7, 0xff bitop3:0xec
	v_bitop3_b16 v6, v6, v7, 0xff bitop3:0xec
	v_cndmask_b32_e32 v6, v8, v6, vcc_lo
	s_delay_alu instid0(VALU_DEP_1)
	v_and_b32_e32 v6, 0xffff, v6
.LBB97_4:
	s_wait_kmcnt 0x0
	s_add_nc_u64 s[0:1], s[8:9], s[2:3]
	s_delay_alu instid0(SALU_CYCLE_1)
	v_add_nc_u64_e32 v[0:1], s[0:1], v[2:3]
	global_store_b16 v[0:1], v6, off
	s_endpgm
.LBB97_5:
                                        ; implicit-def: $vgpr6
	s_cbranch_execz .LBB97_4
; %bb.6:
	v_or_b32_e32 v6, 1, v2
	s_wait_loadcnt 0x0
	ds_store_b32 v1, v5
	s_wait_dscnt 0x0
	s_barrier_signal -1
	s_barrier_wait -1
	s_wait_kmcnt 0x0
	v_cmp_gt_u32_e32 vcc_lo, s0, v6
	v_cmp_gt_u32_e64 s0, s0, v2
	v_cndmask_b32_e32 v6, 0, v4, vcc_lo
	v_cmp_ne_u32_e32 vcc_lo, 0, v0
	s_delay_alu instid0(VALU_DEP_2) | instskip(SKIP_1) | instid1(VALU_DEP_1)
	v_sub_nc_u32_e32 v6, v5, v6
	s_and_b32 s1, vcc_lo, s0
	v_lshlrev_b16 v6, 8, v6
	s_delay_alu instid0(VALU_DEP_1) | instskip(NEXT) | instid1(VALU_DEP_1)
	v_bitop3_b16 v6, v4, v6, 0xff bitop3:0xec
	v_and_b32_e32 v6, 0xffff, v6
	s_and_saveexec_b32 s0, s1
	s_cbranch_execz .LBB97_8
; %bb.7:
	v_add_nc_u32_e32 v0, -4, v1
	ds_load_b32 v0, v0
	s_wait_dscnt 0x0
	v_sub_nc_u32_e32 v0, v4, v0
	s_delay_alu instid0(VALU_DEP_1)
	v_perm_b32 v6, v0, v6, 0xc0c0104
.LBB97_8:
	s_or_b32 exec_lo, exec_lo, s0
	s_add_nc_u64 s[0:1], s[8:9], s[2:3]
	s_delay_alu instid0(SALU_CYCLE_1)
	v_add_nc_u64_e32 v[0:1], s[0:1], v[2:3]
	global_store_b16 v[0:1], v6, off
	s_endpgm
	.section	.rodata,"a",@progbits
	.p2align	6, 0x0
	.amdhsa_kernel _Z33subtract_left_partial_tile_kernelIicc10custom_op1Lj64ELj2EEvPKT_PiPT1_
		.amdhsa_group_segment_fixed_size 512
		.amdhsa_private_segment_fixed_size 0
		.amdhsa_kernarg_size 24
		.amdhsa_user_sgpr_count 2
		.amdhsa_user_sgpr_dispatch_ptr 0
		.amdhsa_user_sgpr_queue_ptr 0
		.amdhsa_user_sgpr_kernarg_segment_ptr 1
		.amdhsa_user_sgpr_dispatch_id 0
		.amdhsa_user_sgpr_kernarg_preload_length 0
		.amdhsa_user_sgpr_kernarg_preload_offset 0
		.amdhsa_user_sgpr_private_segment_size 0
		.amdhsa_wavefront_size32 1
		.amdhsa_uses_dynamic_stack 0
		.amdhsa_enable_private_segment 0
		.amdhsa_system_sgpr_workgroup_id_x 1
		.amdhsa_system_sgpr_workgroup_id_y 0
		.amdhsa_system_sgpr_workgroup_id_z 0
		.amdhsa_system_sgpr_workgroup_info 0
		.amdhsa_system_vgpr_workitem_id 0
		.amdhsa_next_free_vgpr 10
		.amdhsa_next_free_sgpr 13
		.amdhsa_named_barrier_count 0
		.amdhsa_reserve_vcc 1
		.amdhsa_float_round_mode_32 0
		.amdhsa_float_round_mode_16_64 0
		.amdhsa_float_denorm_mode_32 3
		.amdhsa_float_denorm_mode_16_64 3
		.amdhsa_fp16_overflow 0
		.amdhsa_memory_ordered 1
		.amdhsa_forward_progress 1
		.amdhsa_inst_pref_size 4
		.amdhsa_round_robin_scheduling 0
		.amdhsa_exception_fp_ieee_invalid_op 0
		.amdhsa_exception_fp_denorm_src 0
		.amdhsa_exception_fp_ieee_div_zero 0
		.amdhsa_exception_fp_ieee_overflow 0
		.amdhsa_exception_fp_ieee_underflow 0
		.amdhsa_exception_fp_ieee_inexact 0
		.amdhsa_exception_int_div_zero 0
	.end_amdhsa_kernel
	.section	.text._Z33subtract_left_partial_tile_kernelIicc10custom_op1Lj64ELj2EEvPKT_PiPT1_,"axG",@progbits,_Z33subtract_left_partial_tile_kernelIicc10custom_op1Lj64ELj2EEvPKT_PiPT1_,comdat
.Lfunc_end97:
	.size	_Z33subtract_left_partial_tile_kernelIicc10custom_op1Lj64ELj2EEvPKT_PiPT1_, .Lfunc_end97-_Z33subtract_left_partial_tile_kernelIicc10custom_op1Lj64ELj2EEvPKT_PiPT1_
                                        ; -- End function
	.set _Z33subtract_left_partial_tile_kernelIicc10custom_op1Lj64ELj2EEvPKT_PiPT1_.num_vgpr, 10
	.set _Z33subtract_left_partial_tile_kernelIicc10custom_op1Lj64ELj2EEvPKT_PiPT1_.num_agpr, 0
	.set _Z33subtract_left_partial_tile_kernelIicc10custom_op1Lj64ELj2EEvPKT_PiPT1_.numbered_sgpr, 13
	.set _Z33subtract_left_partial_tile_kernelIicc10custom_op1Lj64ELj2EEvPKT_PiPT1_.num_named_barrier, 0
	.set _Z33subtract_left_partial_tile_kernelIicc10custom_op1Lj64ELj2EEvPKT_PiPT1_.private_seg_size, 0
	.set _Z33subtract_left_partial_tile_kernelIicc10custom_op1Lj64ELj2EEvPKT_PiPT1_.uses_vcc, 1
	.set _Z33subtract_left_partial_tile_kernelIicc10custom_op1Lj64ELj2EEvPKT_PiPT1_.uses_flat_scratch, 0
	.set _Z33subtract_left_partial_tile_kernelIicc10custom_op1Lj64ELj2EEvPKT_PiPT1_.has_dyn_sized_stack, 0
	.set _Z33subtract_left_partial_tile_kernelIicc10custom_op1Lj64ELj2EEvPKT_PiPT1_.has_recursion, 0
	.set _Z33subtract_left_partial_tile_kernelIicc10custom_op1Lj64ELj2EEvPKT_PiPT1_.has_indirect_call, 0
	.section	.AMDGPU.csdata,"",@progbits
; Kernel info:
; codeLenInByte = 488
; TotalNumSgprs: 15
; NumVgprs: 10
; ScratchSize: 0
; MemoryBound: 0
; FloatMode: 240
; IeeeMode: 1
; LDSByteSize: 512 bytes/workgroup (compile time only)
; SGPRBlocks: 0
; VGPRBlocks: 0
; NumSGPRsForWavesPerEU: 15
; NumVGPRsForWavesPerEU: 10
; NamedBarCnt: 0
; Occupancy: 16
; WaveLimiterHint : 0
; COMPUTE_PGM_RSRC2:SCRATCH_EN: 0
; COMPUTE_PGM_RSRC2:USER_SGPR: 2
; COMPUTE_PGM_RSRC2:TRAP_HANDLER: 0
; COMPUTE_PGM_RSRC2:TGID_X_EN: 1
; COMPUTE_PGM_RSRC2:TGID_Y_EN: 0
; COMPUTE_PGM_RSRC2:TGID_Z_EN: 0
; COMPUTE_PGM_RSRC2:TIDIG_COMP_CNT: 0
	.section	.text._Z33subtract_left_partial_tile_kernelIhbiN6hipcub3SumELj255ELj1EEvPKT_PiPT1_,"axG",@progbits,_Z33subtract_left_partial_tile_kernelIhbiN6hipcub3SumELj255ELj1EEvPKT_PiPT1_,comdat
	.protected	_Z33subtract_left_partial_tile_kernelIhbiN6hipcub3SumELj255ELj1EEvPKT_PiPT1_ ; -- Begin function _Z33subtract_left_partial_tile_kernelIhbiN6hipcub3SumELj255ELj1EEvPKT_PiPT1_
	.globl	_Z33subtract_left_partial_tile_kernelIhbiN6hipcub3SumELj255ELj1EEvPKT_PiPT1_
	.p2align	8
	.type	_Z33subtract_left_partial_tile_kernelIhbiN6hipcub3SumELj255ELj1EEvPKT_PiPT1_,@function
_Z33subtract_left_partial_tile_kernelIhbiN6hipcub3SumELj255ELj1EEvPKT_PiPT1_: ; @_Z33subtract_left_partial_tile_kernelIhbiN6hipcub3SumELj255ELj1EEvPKT_PiPT1_
; %bb.0:
	s_load_b128 s[4:7], s[0:1], 0x0
	s_bfe_u32 s2, ttmp6, 0x4000c
	s_and_b32 s3, ttmp6, 15
	s_add_co_i32 s2, s2, 1
	s_getreg_b32 s8, hwreg(HW_REG_IB_STS2, 6, 4)
	s_mul_i32 s2, ttmp9, s2
	v_cmp_ne_u32_e32 vcc_lo, 0, v0
	s_add_co_i32 s3, s3, s2
	s_cmp_eq_u32 s8, 0
	s_load_b64 s[8:9], s[0:1], 0x10
	s_cselect_b32 s10, ttmp9, s3
	s_mov_b32 s3, 0
	s_mul_i32 s2, s10, 0xff
	s_bitcmp0_b32 s10, 0
	s_wait_kmcnt 0x0
	s_add_nc_u64 s[0:1], s[4:5], s[2:3]
	global_load_u8 v1, v0, s[0:1]
	s_wait_xcnt 0x0
	s_load_b32 s0, s[6:7], s10 offset:0x0 scale_offset
	s_cbranch_scc1 .LBB98_4
; %bb.1:
	s_add_co_i32 s1, s2, -1
	s_wait_loadcnt 0x0
	ds_store_b8 v0, v1
	v_mov_b32_e32 v2, s1
	global_load_u8 v2, v2, s[4:5]
	s_wait_loadcnt_dscnt 0x0
	s_barrier_signal -1
	s_barrier_wait -1
	s_and_saveexec_b32 s1, vcc_lo
; %bb.2:
	v_add_nc_u32_e32 v2, -1, v0
	ds_load_u8 v2, v2
; %bb.3:
	s_or_b32 exec_lo, exec_lo, s1
	s_wait_kmcnt 0x0
	v_cmp_gt_u32_e32 vcc_lo, s0, v0
	s_wait_dscnt 0x0
	v_cndmask_b32_e32 v2, 0, v2, vcc_lo
	s_delay_alu instid0(VALU_DEP_1)
	v_or_b32_e32 v2, v2, v1
	s_branch .LBB98_8
.LBB98_4:
                                        ; implicit-def: $vgpr2
	s_cbranch_execz .LBB98_8
; %bb.5:
	v_cmp_ne_u32_e32 vcc_lo, 0, v0
	s_wait_kmcnt 0x0
	v_cmp_gt_u32_e64 s0, s0, v0
	s_wait_loadcnt 0x0
	ds_store_b8 v0, v1
	s_wait_dscnt 0x0
	s_barrier_signal -1
	s_barrier_wait -1
	s_and_b32 s1, vcc_lo, s0
	s_delay_alu instid0(SALU_CYCLE_1)
	s_and_saveexec_b32 s0, s1
	s_cbranch_execz .LBB98_7
; %bb.6:
	v_add_nc_u32_e32 v2, -1, v0
	ds_load_u8 v2, v2
	s_wait_dscnt 0x0
	v_or_b32_e32 v1, v2, v1
.LBB98_7:
	s_or_b32 exec_lo, exec_lo, s0
	s_delay_alu instid0(VALU_DEP_1)
	v_mov_b32_e32 v2, v1
.LBB98_8:
	s_wait_loadcnt 0x0
	s_delay_alu instid0(VALU_DEP_1) | instskip(SKIP_2) | instid1(SALU_CYCLE_1)
	v_and_b32_e32 v1, 0xff, v2
	s_wait_kmcnt 0x0
	s_lshl_b64 s[0:1], s[2:3], 2
	s_add_nc_u64 s[0:1], s[8:9], s[0:1]
	s_delay_alu instid0(VALU_DEP_1)
	v_cmp_ne_u16_e32 vcc_lo, 0, v1
	v_cndmask_b32_e64 v1, 0, 1, vcc_lo
	global_store_b32 v0, v1, s[0:1] scale_offset
	s_endpgm
	.section	.rodata,"a",@progbits
	.p2align	6, 0x0
	.amdhsa_kernel _Z33subtract_left_partial_tile_kernelIhbiN6hipcub3SumELj255ELj1EEvPKT_PiPT1_
		.amdhsa_group_segment_fixed_size 510
		.amdhsa_private_segment_fixed_size 0
		.amdhsa_kernarg_size 24
		.amdhsa_user_sgpr_count 2
		.amdhsa_user_sgpr_dispatch_ptr 0
		.amdhsa_user_sgpr_queue_ptr 0
		.amdhsa_user_sgpr_kernarg_segment_ptr 1
		.amdhsa_user_sgpr_dispatch_id 0
		.amdhsa_user_sgpr_kernarg_preload_length 0
		.amdhsa_user_sgpr_kernarg_preload_offset 0
		.amdhsa_user_sgpr_private_segment_size 0
		.amdhsa_wavefront_size32 1
		.amdhsa_uses_dynamic_stack 0
		.amdhsa_enable_private_segment 0
		.amdhsa_system_sgpr_workgroup_id_x 1
		.amdhsa_system_sgpr_workgroup_id_y 0
		.amdhsa_system_sgpr_workgroup_id_z 0
		.amdhsa_system_sgpr_workgroup_info 0
		.amdhsa_system_vgpr_workitem_id 0
		.amdhsa_next_free_vgpr 3
		.amdhsa_next_free_sgpr 11
		.amdhsa_named_barrier_count 0
		.amdhsa_reserve_vcc 1
		.amdhsa_float_round_mode_32 0
		.amdhsa_float_round_mode_16_64 0
		.amdhsa_float_denorm_mode_32 3
		.amdhsa_float_denorm_mode_16_64 3
		.amdhsa_fp16_overflow 0
		.amdhsa_memory_ordered 1
		.amdhsa_forward_progress 1
		.amdhsa_inst_pref_size 3
		.amdhsa_round_robin_scheduling 0
		.amdhsa_exception_fp_ieee_invalid_op 0
		.amdhsa_exception_fp_denorm_src 0
		.amdhsa_exception_fp_ieee_div_zero 0
		.amdhsa_exception_fp_ieee_overflow 0
		.amdhsa_exception_fp_ieee_underflow 0
		.amdhsa_exception_fp_ieee_inexact 0
		.amdhsa_exception_int_div_zero 0
	.end_amdhsa_kernel
	.section	.text._Z33subtract_left_partial_tile_kernelIhbiN6hipcub3SumELj255ELj1EEvPKT_PiPT1_,"axG",@progbits,_Z33subtract_left_partial_tile_kernelIhbiN6hipcub3SumELj255ELj1EEvPKT_PiPT1_,comdat
.Lfunc_end98:
	.size	_Z33subtract_left_partial_tile_kernelIhbiN6hipcub3SumELj255ELj1EEvPKT_PiPT1_, .Lfunc_end98-_Z33subtract_left_partial_tile_kernelIhbiN6hipcub3SumELj255ELj1EEvPKT_PiPT1_
                                        ; -- End function
	.set _Z33subtract_left_partial_tile_kernelIhbiN6hipcub3SumELj255ELj1EEvPKT_PiPT1_.num_vgpr, 3
	.set _Z33subtract_left_partial_tile_kernelIhbiN6hipcub3SumELj255ELj1EEvPKT_PiPT1_.num_agpr, 0
	.set _Z33subtract_left_partial_tile_kernelIhbiN6hipcub3SumELj255ELj1EEvPKT_PiPT1_.numbered_sgpr, 11
	.set _Z33subtract_left_partial_tile_kernelIhbiN6hipcub3SumELj255ELj1EEvPKT_PiPT1_.num_named_barrier, 0
	.set _Z33subtract_left_partial_tile_kernelIhbiN6hipcub3SumELj255ELj1EEvPKT_PiPT1_.private_seg_size, 0
	.set _Z33subtract_left_partial_tile_kernelIhbiN6hipcub3SumELj255ELj1EEvPKT_PiPT1_.uses_vcc, 1
	.set _Z33subtract_left_partial_tile_kernelIhbiN6hipcub3SumELj255ELj1EEvPKT_PiPT1_.uses_flat_scratch, 0
	.set _Z33subtract_left_partial_tile_kernelIhbiN6hipcub3SumELj255ELj1EEvPKT_PiPT1_.has_dyn_sized_stack, 0
	.set _Z33subtract_left_partial_tile_kernelIhbiN6hipcub3SumELj255ELj1EEvPKT_PiPT1_.has_recursion, 0
	.set _Z33subtract_left_partial_tile_kernelIhbiN6hipcub3SumELj255ELj1EEvPKT_PiPT1_.has_indirect_call, 0
	.section	.AMDGPU.csdata,"",@progbits
; Kernel info:
; codeLenInByte = 352
; TotalNumSgprs: 13
; NumVgprs: 3
; ScratchSize: 0
; MemoryBound: 0
; FloatMode: 240
; IeeeMode: 1
; LDSByteSize: 510 bytes/workgroup (compile time only)
; SGPRBlocks: 0
; VGPRBlocks: 0
; NumSGPRsForWavesPerEU: 13
; NumVGPRsForWavesPerEU: 3
; NamedBarCnt: 0
; Occupancy: 16
; WaveLimiterHint : 0
; COMPUTE_PGM_RSRC2:SCRATCH_EN: 0
; COMPUTE_PGM_RSRC2:USER_SGPR: 2
; COMPUTE_PGM_RSRC2:TRAP_HANDLER: 0
; COMPUTE_PGM_RSRC2:TGID_X_EN: 1
; COMPUTE_PGM_RSRC2:TGID_Y_EN: 0
; COMPUTE_PGM_RSRC2:TGID_Z_EN: 0
; COMPUTE_PGM_RSRC2:TIDIG_COMP_CNT: 0
	.section	.text._Z33subtract_left_partial_tile_kernelIjxx10custom_op2Lj162ELj1EEvPKT_PiPT1_,"axG",@progbits,_Z33subtract_left_partial_tile_kernelIjxx10custom_op2Lj162ELj1EEvPKT_PiPT1_,comdat
	.protected	_Z33subtract_left_partial_tile_kernelIjxx10custom_op2Lj162ELj1EEvPKT_PiPT1_ ; -- Begin function _Z33subtract_left_partial_tile_kernelIjxx10custom_op2Lj162ELj1EEvPKT_PiPT1_
	.globl	_Z33subtract_left_partial_tile_kernelIjxx10custom_op2Lj162ELj1EEvPKT_PiPT1_
	.p2align	8
	.type	_Z33subtract_left_partial_tile_kernelIjxx10custom_op2Lj162ELj1EEvPKT_PiPT1_,@function
_Z33subtract_left_partial_tile_kernelIjxx10custom_op2Lj162ELj1EEvPKT_PiPT1_: ; @_Z33subtract_left_partial_tile_kernelIjxx10custom_op2Lj162ELj1EEvPKT_PiPT1_
; %bb.0:
	s_load_b128 s[4:7], s[0:1], 0x0
	s_bfe_u32 s2, ttmp6, 0x4000c
	s_and_b32 s3, ttmp6, 15
	s_add_co_i32 s2, s2, 1
	s_getreg_b32 s8, hwreg(HW_REG_IB_STS2, 6, 4)
	s_mul_i32 s2, ttmp9, s2
	v_lshlrev_b32_e32 v3, 2, v0
	s_add_co_i32 s3, s3, s2
	s_cmp_eq_u32 s8, 0
	s_load_b64 s[8:9], s[0:1], 0x10
	s_cselect_b32 s12, ttmp9, s3
	s_mov_b32 s3, 0
	s_mul_i32 s2, s12, 0xa2
	v_cmp_ne_u32_e32 vcc_lo, 0, v0
	s_lshl_b64 s[10:11], s[2:3], 2
	s_bitcmp0_b32 s12, 0
	s_wait_kmcnt 0x0
	s_add_nc_u64 s[0:1], s[4:5], s[10:11]
	global_load_b32 v1, v0, s[0:1] scale_offset
	s_wait_xcnt 0x0
	s_load_b32 s0, s[6:7], s12 offset:0x0 scale_offset
	s_cbranch_scc1 .LBB99_4
; %bb.1:
	s_add_co_i32 s1, s2, -1
	s_wait_loadcnt 0x0
	ds_store_b32 v3, v1
	s_load_b32 s1, s[4:5], s1 offset:0x0 scale_offset
	s_wait_dscnt 0x0
	s_barrier_signal -1
	s_barrier_wait -1
	s_wait_kmcnt 0x0
	v_mov_b32_e32 v2, s1
	s_and_saveexec_b32 s1, vcc_lo
; %bb.2:
	v_add_nc_u32_e32 v2, -4, v3
	ds_load_b32 v2, v2
; %bb.3:
	s_or_b32 exec_lo, exec_lo, s1
	s_wait_dscnt 0x0
	v_lshlrev_b32_e32 v2, 1, v2
	v_cmp_gt_u32_e32 vcc_lo, s0, v0
	s_delay_alu instid0(VALU_DEP_2) | instskip(NEXT) | instid1(VALU_DEP_1)
	v_sub_nc_u32_e32 v2, v2, v1
	v_cndmask_b32_e32 v2, v1, v2, vcc_lo
	s_branch .LBB99_8
.LBB99_4:
                                        ; implicit-def: $vgpr2
	s_cbranch_execz .LBB99_8
; %bb.5:
	v_cmp_ne_u32_e32 vcc_lo, 0, v0
	s_wait_kmcnt 0x0
	v_cmp_gt_u32_e64 s0, s0, v0
	s_wait_loadcnt 0x0
	ds_store_b32 v3, v1
	s_wait_dscnt 0x0
	s_barrier_signal -1
	s_barrier_wait -1
	s_and_b32 s1, vcc_lo, s0
	s_delay_alu instid0(SALU_CYCLE_1)
	s_and_saveexec_b32 s0, s1
	s_cbranch_execz .LBB99_7
; %bb.6:
	v_add_nc_u32_e32 v2, -4, v3
	ds_load_b32 v2, v2
	s_wait_dscnt 0x0
	v_lshlrev_b32_e32 v2, 1, v2
	s_delay_alu instid0(VALU_DEP_1)
	v_sub_nc_u32_e32 v1, v2, v1
.LBB99_7:
	s_or_b32 exec_lo, exec_lo, s0
	s_delay_alu instid0(VALU_DEP_1)
	v_mov_b32_e32 v2, v1
.LBB99_8:
	v_mov_b32_e32 v3, 0
	s_wait_kmcnt 0x0
	s_lshl_b64 s[0:1], s[2:3], 3
	s_delay_alu instid0(SALU_CYCLE_1)
	s_add_nc_u64 s[0:1], s[8:9], s[0:1]
	global_store_b64 v0, v[2:3], s[0:1] scale_offset
	s_endpgm
	.section	.rodata,"a",@progbits
	.p2align	6, 0x0
	.amdhsa_kernel _Z33subtract_left_partial_tile_kernelIjxx10custom_op2Lj162ELj1EEvPKT_PiPT1_
		.amdhsa_group_segment_fixed_size 1296
		.amdhsa_private_segment_fixed_size 0
		.amdhsa_kernarg_size 24
		.amdhsa_user_sgpr_count 2
		.amdhsa_user_sgpr_dispatch_ptr 0
		.amdhsa_user_sgpr_queue_ptr 0
		.amdhsa_user_sgpr_kernarg_segment_ptr 1
		.amdhsa_user_sgpr_dispatch_id 0
		.amdhsa_user_sgpr_kernarg_preload_length 0
		.amdhsa_user_sgpr_kernarg_preload_offset 0
		.amdhsa_user_sgpr_private_segment_size 0
		.amdhsa_wavefront_size32 1
		.amdhsa_uses_dynamic_stack 0
		.amdhsa_enable_private_segment 0
		.amdhsa_system_sgpr_workgroup_id_x 1
		.amdhsa_system_sgpr_workgroup_id_y 0
		.amdhsa_system_sgpr_workgroup_id_z 0
		.amdhsa_system_sgpr_workgroup_info 0
		.amdhsa_system_vgpr_workitem_id 0
		.amdhsa_next_free_vgpr 4
		.amdhsa_next_free_sgpr 13
		.amdhsa_named_barrier_count 0
		.amdhsa_reserve_vcc 1
		.amdhsa_float_round_mode_32 0
		.amdhsa_float_round_mode_16_64 0
		.amdhsa_float_denorm_mode_32 3
		.amdhsa_float_denorm_mode_16_64 3
		.amdhsa_fp16_overflow 0
		.amdhsa_memory_ordered 1
		.amdhsa_forward_progress 1
		.amdhsa_inst_pref_size 3
		.amdhsa_round_robin_scheduling 0
		.amdhsa_exception_fp_ieee_invalid_op 0
		.amdhsa_exception_fp_denorm_src 0
		.amdhsa_exception_fp_ieee_div_zero 0
		.amdhsa_exception_fp_ieee_overflow 0
		.amdhsa_exception_fp_ieee_underflow 0
		.amdhsa_exception_fp_ieee_inexact 0
		.amdhsa_exception_int_div_zero 0
	.end_amdhsa_kernel
	.section	.text._Z33subtract_left_partial_tile_kernelIjxx10custom_op2Lj162ELj1EEvPKT_PiPT1_,"axG",@progbits,_Z33subtract_left_partial_tile_kernelIjxx10custom_op2Lj162ELj1EEvPKT_PiPT1_,comdat
.Lfunc_end99:
	.size	_Z33subtract_left_partial_tile_kernelIjxx10custom_op2Lj162ELj1EEvPKT_PiPT1_, .Lfunc_end99-_Z33subtract_left_partial_tile_kernelIjxx10custom_op2Lj162ELj1EEvPKT_PiPT1_
                                        ; -- End function
	.set _Z33subtract_left_partial_tile_kernelIjxx10custom_op2Lj162ELj1EEvPKT_PiPT1_.num_vgpr, 4
	.set _Z33subtract_left_partial_tile_kernelIjxx10custom_op2Lj162ELj1EEvPKT_PiPT1_.num_agpr, 0
	.set _Z33subtract_left_partial_tile_kernelIjxx10custom_op2Lj162ELj1EEvPKT_PiPT1_.numbered_sgpr, 13
	.set _Z33subtract_left_partial_tile_kernelIjxx10custom_op2Lj162ELj1EEvPKT_PiPT1_.num_named_barrier, 0
	.set _Z33subtract_left_partial_tile_kernelIjxx10custom_op2Lj162ELj1EEvPKT_PiPT1_.private_seg_size, 0
	.set _Z33subtract_left_partial_tile_kernelIjxx10custom_op2Lj162ELj1EEvPKT_PiPT1_.uses_vcc, 1
	.set _Z33subtract_left_partial_tile_kernelIjxx10custom_op2Lj162ELj1EEvPKT_PiPT1_.uses_flat_scratch, 0
	.set _Z33subtract_left_partial_tile_kernelIjxx10custom_op2Lj162ELj1EEvPKT_PiPT1_.has_dyn_sized_stack, 0
	.set _Z33subtract_left_partial_tile_kernelIjxx10custom_op2Lj162ELj1EEvPKT_PiPT1_.has_recursion, 0
	.set _Z33subtract_left_partial_tile_kernelIjxx10custom_op2Lj162ELj1EEvPKT_PiPT1_.has_indirect_call, 0
	.section	.AMDGPU.csdata,"",@progbits
; Kernel info:
; codeLenInByte = 344
; TotalNumSgprs: 15
; NumVgprs: 4
; ScratchSize: 0
; MemoryBound: 0
; FloatMode: 240
; IeeeMode: 1
; LDSByteSize: 1296 bytes/workgroup (compile time only)
; SGPRBlocks: 0
; VGPRBlocks: 0
; NumSGPRsForWavesPerEU: 15
; NumVGPRsForWavesPerEU: 4
; NamedBarCnt: 0
; Occupancy: 16
; WaveLimiterHint : 0
; COMPUTE_PGM_RSRC2:SCRATCH_EN: 0
; COMPUTE_PGM_RSRC2:USER_SGPR: 2
; COMPUTE_PGM_RSRC2:TRAP_HANDLER: 0
; COMPUTE_PGM_RSRC2:TGID_X_EN: 1
; COMPUTE_PGM_RSRC2:TGID_Y_EN: 0
; COMPUTE_PGM_RSRC2:TGID_Z_EN: 0
; COMPUTE_PGM_RSRC2:TIDIG_COMP_CNT: 0
	.section	.text._Z33subtract_left_partial_tile_kernelIxcc10custom_op1Lj510ELj1EEvPKT_PiPT1_,"axG",@progbits,_Z33subtract_left_partial_tile_kernelIxcc10custom_op1Lj510ELj1EEvPKT_PiPT1_,comdat
	.protected	_Z33subtract_left_partial_tile_kernelIxcc10custom_op1Lj510ELj1EEvPKT_PiPT1_ ; -- Begin function _Z33subtract_left_partial_tile_kernelIxcc10custom_op1Lj510ELj1EEvPKT_PiPT1_
	.globl	_Z33subtract_left_partial_tile_kernelIxcc10custom_op1Lj510ELj1EEvPKT_PiPT1_
	.p2align	8
	.type	_Z33subtract_left_partial_tile_kernelIxcc10custom_op1Lj510ELj1EEvPKT_PiPT1_,@function
_Z33subtract_left_partial_tile_kernelIxcc10custom_op1Lj510ELj1EEvPKT_PiPT1_: ; @_Z33subtract_left_partial_tile_kernelIxcc10custom_op1Lj510ELj1EEvPKT_PiPT1_
; %bb.0:
	s_load_b128 s[4:7], s[0:1], 0x0
	s_bfe_u32 s2, ttmp6, 0x4000c
	s_and_b32 s3, ttmp6, 15
	s_add_co_i32 s2, s2, 1
	s_getreg_b32 s8, hwreg(HW_REG_IB_STS2, 6, 4)
	s_mul_i32 s2, ttmp9, s2
	v_dual_mov_b32 v1, 0 :: v_dual_lshlrev_b32 v6, 3, v0
	s_add_co_i32 s3, s3, s2
	s_cmp_eq_u32 s8, 0
	s_load_b64 s[8:9], s[0:1], 0x10
	s_cselect_b32 s12, ttmp9, s3
	s_mov_b32 s3, 0
	s_mul_i32 s2, s12, 0x1fe
	v_cmp_ne_u32_e32 vcc_lo, 0, v0
	s_lshl_b64 s[10:11], s[2:3], 3
	s_bitcmp0_b32 s12, 0
	s_wait_kmcnt 0x0
	s_add_nc_u64 s[0:1], s[4:5], s[10:11]
	global_load_b64 v[2:3], v0, s[0:1] scale_offset
	s_wait_xcnt 0x0
	s_load_b32 s0, s[6:7], s12 offset:0x0 scale_offset
	s_cbranch_scc1 .LBB100_5
; %bb.1:
	s_add_co_i32 s1, s2, -1
	s_wait_loadcnt 0x0
	ds_store_b64 v6, v[2:3]
	s_load_b64 s[4:5], s[4:5], s1 offset:0x0 scale_offset
	s_wait_dscnt 0x0
	s_barrier_signal -1
	s_barrier_wait -1
	s_wait_kmcnt 0x0
	v_mov_b64_e32 v[4:5], s[4:5]
	s_and_saveexec_b32 s1, vcc_lo
; %bb.2:
	v_add_nc_u32_e32 v4, -8, v6
	ds_load_b64 v[4:5], v4
; %bb.3:
	s_or_b32 exec_lo, exec_lo, s1
	v_cmp_gt_u32_e32 vcc_lo, s0, v0
	s_wait_dscnt 0x0
	v_dual_cndmask_b32 v5, 0, v5 :: v_dual_cndmask_b32 v4, 0, v4
	s_delay_alu instid0(VALU_DEP_1)
	v_sub_nc_u64_e32 v[4:5], v[2:3], v[4:5]
.LBB100_4:
	s_wait_kmcnt 0x0
	s_add_nc_u64 s[0:1], s[8:9], s[2:3]
	s_delay_alu instid0(SALU_CYCLE_1)
	v_add_nc_u64_e32 v[0:1], s[0:1], v[0:1]
	global_store_b8 v[0:1], v4, off
	s_endpgm
.LBB100_5:
                                        ; implicit-def: $vgpr4_vgpr5
	s_cbranch_execz .LBB100_4
; %bb.6:
	v_cmp_ne_u32_e32 vcc_lo, 0, v0
	s_wait_kmcnt 0x0
	v_cmp_gt_u32_e64 s0, s0, v0
	s_wait_loadcnt 0x0
	ds_store_b64 v6, v[2:3]
	s_wait_dscnt 0x0
	s_barrier_signal -1
	s_barrier_wait -1
	s_and_b32 s1, vcc_lo, s0
	s_delay_alu instid0(SALU_CYCLE_1)
	s_and_saveexec_b32 s0, s1
	s_cbranch_execz .LBB100_8
; %bb.7:
	v_add_nc_u32_e32 v4, -8, v6
	ds_load_b64 v[4:5], v4
	s_wait_dscnt 0x0
	v_sub_nc_u64_e32 v[2:3], v[2:3], v[4:5]
.LBB100_8:
	s_or_b32 exec_lo, exec_lo, s0
	s_delay_alu instid0(VALU_DEP_1) | instskip(SKIP_1) | instid1(SALU_CYCLE_1)
	v_mov_b64_e32 v[4:5], v[2:3]
	s_add_nc_u64 s[0:1], s[8:9], s[2:3]
	v_add_nc_u64_e32 v[0:1], s[0:1], v[0:1]
	global_store_b8 v[0:1], v4, off
	s_endpgm
	.section	.rodata,"a",@progbits
	.p2align	6, 0x0
	.amdhsa_kernel _Z33subtract_left_partial_tile_kernelIxcc10custom_op1Lj510ELj1EEvPKT_PiPT1_
		.amdhsa_group_segment_fixed_size 8160
		.amdhsa_private_segment_fixed_size 0
		.amdhsa_kernarg_size 24
		.amdhsa_user_sgpr_count 2
		.amdhsa_user_sgpr_dispatch_ptr 0
		.amdhsa_user_sgpr_queue_ptr 0
		.amdhsa_user_sgpr_kernarg_segment_ptr 1
		.amdhsa_user_sgpr_dispatch_id 0
		.amdhsa_user_sgpr_kernarg_preload_length 0
		.amdhsa_user_sgpr_kernarg_preload_offset 0
		.amdhsa_user_sgpr_private_segment_size 0
		.amdhsa_wavefront_size32 1
		.amdhsa_uses_dynamic_stack 0
		.amdhsa_enable_private_segment 0
		.amdhsa_system_sgpr_workgroup_id_x 1
		.amdhsa_system_sgpr_workgroup_id_y 0
		.amdhsa_system_sgpr_workgroup_id_z 0
		.amdhsa_system_sgpr_workgroup_info 0
		.amdhsa_system_vgpr_workitem_id 0
		.amdhsa_next_free_vgpr 7
		.amdhsa_next_free_sgpr 13
		.amdhsa_named_barrier_count 0
		.amdhsa_reserve_vcc 1
		.amdhsa_float_round_mode_32 0
		.amdhsa_float_round_mode_16_64 0
		.amdhsa_float_denorm_mode_32 3
		.amdhsa_float_denorm_mode_16_64 3
		.amdhsa_fp16_overflow 0
		.amdhsa_memory_ordered 1
		.amdhsa_forward_progress 1
		.amdhsa_inst_pref_size 3
		.amdhsa_round_robin_scheduling 0
		.amdhsa_exception_fp_ieee_invalid_op 0
		.amdhsa_exception_fp_denorm_src 0
		.amdhsa_exception_fp_ieee_div_zero 0
		.amdhsa_exception_fp_ieee_overflow 0
		.amdhsa_exception_fp_ieee_underflow 0
		.amdhsa_exception_fp_ieee_inexact 0
		.amdhsa_exception_int_div_zero 0
	.end_amdhsa_kernel
	.section	.text._Z33subtract_left_partial_tile_kernelIxcc10custom_op1Lj510ELj1EEvPKT_PiPT1_,"axG",@progbits,_Z33subtract_left_partial_tile_kernelIxcc10custom_op1Lj510ELj1EEvPKT_PiPT1_,comdat
.Lfunc_end100:
	.size	_Z33subtract_left_partial_tile_kernelIxcc10custom_op1Lj510ELj1EEvPKT_PiPT1_, .Lfunc_end100-_Z33subtract_left_partial_tile_kernelIxcc10custom_op1Lj510ELj1EEvPKT_PiPT1_
                                        ; -- End function
	.set _Z33subtract_left_partial_tile_kernelIxcc10custom_op1Lj510ELj1EEvPKT_PiPT1_.num_vgpr, 7
	.set _Z33subtract_left_partial_tile_kernelIxcc10custom_op1Lj510ELj1EEvPKT_PiPT1_.num_agpr, 0
	.set _Z33subtract_left_partial_tile_kernelIxcc10custom_op1Lj510ELj1EEvPKT_PiPT1_.numbered_sgpr, 13
	.set _Z33subtract_left_partial_tile_kernelIxcc10custom_op1Lj510ELj1EEvPKT_PiPT1_.num_named_barrier, 0
	.set _Z33subtract_left_partial_tile_kernelIxcc10custom_op1Lj510ELj1EEvPKT_PiPT1_.private_seg_size, 0
	.set _Z33subtract_left_partial_tile_kernelIxcc10custom_op1Lj510ELj1EEvPKT_PiPT1_.uses_vcc, 1
	.set _Z33subtract_left_partial_tile_kernelIxcc10custom_op1Lj510ELj1EEvPKT_PiPT1_.uses_flat_scratch, 0
	.set _Z33subtract_left_partial_tile_kernelIxcc10custom_op1Lj510ELj1EEvPKT_PiPT1_.has_dyn_sized_stack, 0
	.set _Z33subtract_left_partial_tile_kernelIxcc10custom_op1Lj510ELj1EEvPKT_PiPT1_.has_recursion, 0
	.set _Z33subtract_left_partial_tile_kernelIxcc10custom_op1Lj510ELj1EEvPKT_PiPT1_.has_indirect_call, 0
	.section	.AMDGPU.csdata,"",@progbits
; Kernel info:
; codeLenInByte = 356
; TotalNumSgprs: 15
; NumVgprs: 7
; ScratchSize: 0
; MemoryBound: 0
; FloatMode: 240
; IeeeMode: 1
; LDSByteSize: 8160 bytes/workgroup (compile time only)
; SGPRBlocks: 0
; VGPRBlocks: 0
; NumSGPRsForWavesPerEU: 15
; NumVGPRsForWavesPerEU: 7
; NamedBarCnt: 0
; Occupancy: 16
; WaveLimiterHint : 0
; COMPUTE_PGM_RSRC2:SCRATCH_EN: 0
; COMPUTE_PGM_RSRC2:USER_SGPR: 2
; COMPUTE_PGM_RSRC2:TRAP_HANDLER: 0
; COMPUTE_PGM_RSRC2:TGID_X_EN: 1
; COMPUTE_PGM_RSRC2:TGID_Y_EN: 0
; COMPUTE_PGM_RSRC2:TGID_Z_EN: 0
; COMPUTE_PGM_RSRC2:TIDIG_COMP_CNT: 0
	.section	.text._Z33subtract_left_partial_tile_kernelIfiiN6hipcub3SumELj37ELj1EEvPKT_PiPT1_,"axG",@progbits,_Z33subtract_left_partial_tile_kernelIfiiN6hipcub3SumELj37ELj1EEvPKT_PiPT1_,comdat
	.protected	_Z33subtract_left_partial_tile_kernelIfiiN6hipcub3SumELj37ELj1EEvPKT_PiPT1_ ; -- Begin function _Z33subtract_left_partial_tile_kernelIfiiN6hipcub3SumELj37ELj1EEvPKT_PiPT1_
	.globl	_Z33subtract_left_partial_tile_kernelIfiiN6hipcub3SumELj37ELj1EEvPKT_PiPT1_
	.p2align	8
	.type	_Z33subtract_left_partial_tile_kernelIfiiN6hipcub3SumELj37ELj1EEvPKT_PiPT1_,@function
_Z33subtract_left_partial_tile_kernelIfiiN6hipcub3SumELj37ELj1EEvPKT_PiPT1_: ; @_Z33subtract_left_partial_tile_kernelIfiiN6hipcub3SumELj37ELj1EEvPKT_PiPT1_
; %bb.0:
	s_load_b128 s[4:7], s[0:1], 0x0
	s_bfe_u32 s2, ttmp6, 0x4000c
	s_and_b32 s3, ttmp6, 15
	s_add_co_i32 s2, s2, 1
	s_getreg_b32 s8, hwreg(HW_REG_IB_STS2, 6, 4)
	s_mul_i32 s2, ttmp9, s2
	s_mov_b32 s11, 0
	s_add_co_i32 s3, s3, s2
	s_cmp_eq_u32 s8, 0
	s_load_b64 s[8:9], s[0:1], 0x10
	s_cselect_b32 s12, ttmp9, s3
	v_lshlrev_b32_e32 v2, 2, v0
	s_mul_i32 s10, s12, 37
	v_cmp_ne_u32_e32 vcc_lo, 0, v0
	s_lshl_b64 s[2:3], s[10:11], 2
	s_bitcmp0_b32 s12, 0
	s_wait_kmcnt 0x0
	s_add_nc_u64 s[0:1], s[4:5], s[2:3]
	global_load_b32 v1, v0, s[0:1] scale_offset
	s_wait_xcnt 0x0
	s_load_b32 s0, s[6:7], s12 offset:0x0 scale_offset
	s_cbranch_scc1 .LBB101_5
; %bb.1:
	s_add_co_i32 s1, s10, -1
	s_wait_loadcnt 0x0
	ds_store_b32 v2, v1
	s_load_b32 s1, s[4:5], s1 offset:0x0 scale_offset
	s_wait_dscnt 0x0
	s_barrier_signal -1
	s_barrier_wait -1
	s_wait_kmcnt 0x0
	v_mov_b32_e32 v3, s1
	s_and_saveexec_b32 s1, vcc_lo
; %bb.2:
	v_add_nc_u32_e32 v3, -4, v2
	ds_load_b32 v3, v3
; %bb.3:
	s_or_b32 exec_lo, exec_lo, s1
	s_wait_dscnt 0x0
	v_add_f32_e32 v3, v1, v3
	v_cmp_gt_u32_e32 vcc_lo, s0, v0
	s_delay_alu instid0(VALU_DEP_2)
	v_cndmask_b32_e32 v3, v1, v3, vcc_lo
.LBB101_4:
	s_wait_loadcnt 0x0
	s_delay_alu instid0(VALU_DEP_1)
	v_cvt_i32_f32_e32 v1, v3
	s_wait_kmcnt 0x0
	s_add_nc_u64 s[0:1], s[8:9], s[2:3]
	global_store_b32 v0, v1, s[0:1] scale_offset
	s_endpgm
.LBB101_5:
                                        ; implicit-def: $vgpr3
	s_cbranch_execz .LBB101_4
; %bb.6:
	v_cmp_ne_u32_e32 vcc_lo, 0, v0
	s_wait_kmcnt 0x0
	v_cmp_gt_u32_e64 s0, s0, v0
	s_wait_loadcnt 0x0
	ds_store_b32 v2, v1
	s_wait_dscnt 0x0
	s_barrier_signal -1
	s_barrier_wait -1
	s_and_b32 s1, vcc_lo, s0
	s_delay_alu instid0(SALU_CYCLE_1)
	s_and_saveexec_b32 s0, s1
	s_cbranch_execz .LBB101_8
; %bb.7:
	v_add_nc_u32_e32 v2, -4, v2
	ds_load_b32 v2, v2
	s_wait_dscnt 0x0
	v_add_f32_e32 v1, v1, v2
.LBB101_8:
	s_or_b32 exec_lo, exec_lo, s0
	s_delay_alu instid0(VALU_DEP_1) | instskip(NEXT) | instid1(VALU_DEP_1)
	v_mov_b32_e32 v3, v1
	v_cvt_i32_f32_e32 v1, v3
	s_add_nc_u64 s[0:1], s[8:9], s[2:3]
	global_store_b32 v0, v1, s[0:1] scale_offset
	s_endpgm
	.section	.rodata,"a",@progbits
	.p2align	6, 0x0
	.amdhsa_kernel _Z33subtract_left_partial_tile_kernelIfiiN6hipcub3SumELj37ELj1EEvPKT_PiPT1_
		.amdhsa_group_segment_fixed_size 296
		.amdhsa_private_segment_fixed_size 0
		.amdhsa_kernarg_size 24
		.amdhsa_user_sgpr_count 2
		.amdhsa_user_sgpr_dispatch_ptr 0
		.amdhsa_user_sgpr_queue_ptr 0
		.amdhsa_user_sgpr_kernarg_segment_ptr 1
		.amdhsa_user_sgpr_dispatch_id 0
		.amdhsa_user_sgpr_kernarg_preload_length 0
		.amdhsa_user_sgpr_kernarg_preload_offset 0
		.amdhsa_user_sgpr_private_segment_size 0
		.amdhsa_wavefront_size32 1
		.amdhsa_uses_dynamic_stack 0
		.amdhsa_enable_private_segment 0
		.amdhsa_system_sgpr_workgroup_id_x 1
		.amdhsa_system_sgpr_workgroup_id_y 0
		.amdhsa_system_sgpr_workgroup_id_z 0
		.amdhsa_system_sgpr_workgroup_info 0
		.amdhsa_system_vgpr_workitem_id 0
		.amdhsa_next_free_vgpr 4
		.amdhsa_next_free_sgpr 13
		.amdhsa_named_barrier_count 0
		.amdhsa_reserve_vcc 1
		.amdhsa_float_round_mode_32 0
		.amdhsa_float_round_mode_16_64 0
		.amdhsa_float_denorm_mode_32 3
		.amdhsa_float_denorm_mode_16_64 3
		.amdhsa_fp16_overflow 0
		.amdhsa_memory_ordered 1
		.amdhsa_forward_progress 1
		.amdhsa_inst_pref_size 3
		.amdhsa_round_robin_scheduling 0
		.amdhsa_exception_fp_ieee_invalid_op 0
		.amdhsa_exception_fp_denorm_src 0
		.amdhsa_exception_fp_ieee_div_zero 0
		.amdhsa_exception_fp_ieee_overflow 0
		.amdhsa_exception_fp_ieee_underflow 0
		.amdhsa_exception_fp_ieee_inexact 0
		.amdhsa_exception_int_div_zero 0
	.end_amdhsa_kernel
	.section	.text._Z33subtract_left_partial_tile_kernelIfiiN6hipcub3SumELj37ELj1EEvPKT_PiPT1_,"axG",@progbits,_Z33subtract_left_partial_tile_kernelIfiiN6hipcub3SumELj37ELj1EEvPKT_PiPT1_,comdat
.Lfunc_end101:
	.size	_Z33subtract_left_partial_tile_kernelIfiiN6hipcub3SumELj37ELj1EEvPKT_PiPT1_, .Lfunc_end101-_Z33subtract_left_partial_tile_kernelIfiiN6hipcub3SumELj37ELj1EEvPKT_PiPT1_
                                        ; -- End function
	.set _Z33subtract_left_partial_tile_kernelIfiiN6hipcub3SumELj37ELj1EEvPKT_PiPT1_.num_vgpr, 4
	.set _Z33subtract_left_partial_tile_kernelIfiiN6hipcub3SumELj37ELj1EEvPKT_PiPT1_.num_agpr, 0
	.set _Z33subtract_left_partial_tile_kernelIfiiN6hipcub3SumELj37ELj1EEvPKT_PiPT1_.numbered_sgpr, 13
	.set _Z33subtract_left_partial_tile_kernelIfiiN6hipcub3SumELj37ELj1EEvPKT_PiPT1_.num_named_barrier, 0
	.set _Z33subtract_left_partial_tile_kernelIfiiN6hipcub3SumELj37ELj1EEvPKT_PiPT1_.private_seg_size, 0
	.set _Z33subtract_left_partial_tile_kernelIfiiN6hipcub3SumELj37ELj1EEvPKT_PiPT1_.uses_vcc, 1
	.set _Z33subtract_left_partial_tile_kernelIfiiN6hipcub3SumELj37ELj1EEvPKT_PiPT1_.uses_flat_scratch, 0
	.set _Z33subtract_left_partial_tile_kernelIfiiN6hipcub3SumELj37ELj1EEvPKT_PiPT1_.has_dyn_sized_stack, 0
	.set _Z33subtract_left_partial_tile_kernelIfiiN6hipcub3SumELj37ELj1EEvPKT_PiPT1_.has_recursion, 0
	.set _Z33subtract_left_partial_tile_kernelIfiiN6hipcub3SumELj37ELj1EEvPKT_PiPT1_.has_indirect_call, 0
	.section	.AMDGPU.csdata,"",@progbits
; Kernel info:
; codeLenInByte = 348
; TotalNumSgprs: 15
; NumVgprs: 4
; ScratchSize: 0
; MemoryBound: 0
; FloatMode: 240
; IeeeMode: 1
; LDSByteSize: 296 bytes/workgroup (compile time only)
; SGPRBlocks: 0
; VGPRBlocks: 0
; NumSGPRsForWavesPerEU: 15
; NumVGPRsForWavesPerEU: 4
; NamedBarCnt: 0
; Occupancy: 16
; WaveLimiterHint : 0
; COMPUTE_PGM_RSRC2:SCRATCH_EN: 0
; COMPUTE_PGM_RSRC2:USER_SGPR: 2
; COMPUTE_PGM_RSRC2:TRAP_HANDLER: 0
; COMPUTE_PGM_RSRC2:TGID_X_EN: 1
; COMPUTE_PGM_RSRC2:TGID_Y_EN: 0
; COMPUTE_PGM_RSRC2:TGID_Z_EN: 0
; COMPUTE_PGM_RSRC2:TIDIG_COMP_CNT: 0
	.section	.text._Z33subtract_left_partial_tile_kernelIibi10custom_op1Lj256ELj1EEvPKT_PiPT1_,"axG",@progbits,_Z33subtract_left_partial_tile_kernelIibi10custom_op1Lj256ELj1EEvPKT_PiPT1_,comdat
	.protected	_Z33subtract_left_partial_tile_kernelIibi10custom_op1Lj256ELj1EEvPKT_PiPT1_ ; -- Begin function _Z33subtract_left_partial_tile_kernelIibi10custom_op1Lj256ELj1EEvPKT_PiPT1_
	.globl	_Z33subtract_left_partial_tile_kernelIibi10custom_op1Lj256ELj1EEvPKT_PiPT1_
	.p2align	8
	.type	_Z33subtract_left_partial_tile_kernelIibi10custom_op1Lj256ELj1EEvPKT_PiPT1_,@function
_Z33subtract_left_partial_tile_kernelIibi10custom_op1Lj256ELj1EEvPKT_PiPT1_: ; @_Z33subtract_left_partial_tile_kernelIibi10custom_op1Lj256ELj1EEvPKT_PiPT1_
; %bb.0:
	s_load_b128 s[4:7], s[0:1], 0x0
	s_bfe_u32 s2, ttmp6, 0x4000c
	s_and_b32 s3, ttmp6, 15
	s_add_co_i32 s2, s2, 1
	s_getreg_b32 s8, hwreg(HW_REG_IB_STS2, 6, 4)
	s_mul_i32 s2, ttmp9, s2
	s_mov_b32 s11, 0
	s_add_co_i32 s3, s3, s2
	s_cmp_eq_u32 s8, 0
	s_load_b64 s[8:9], s[0:1], 0x10
	s_cselect_b32 s12, ttmp9, s3
	v_lshlrev_b32_e32 v2, 2, v0
	s_lshl_b32 s10, s12, 8
	v_cmp_ne_u32_e32 vcc_lo, 0, v0
	s_lshl_b64 s[2:3], s[10:11], 2
	s_bitcmp0_b32 s12, 0
	s_wait_kmcnt 0x0
	s_add_nc_u64 s[0:1], s[4:5], s[2:3]
	global_load_b32 v1, v0, s[0:1] scale_offset
	s_wait_xcnt 0x0
	s_load_b32 s0, s[6:7], s12 offset:0x0 scale_offset
	s_cbranch_scc1 .LBB102_4
; %bb.1:
	s_add_co_i32 s1, s10, -1
	s_wait_loadcnt 0x0
	ds_store_b32 v2, v1
	s_load_b32 s1, s[4:5], s1 offset:0x0 scale_offset
	s_wait_dscnt 0x0
	s_barrier_signal -1
	s_barrier_wait -1
	s_wait_kmcnt 0x0
	v_mov_b32_e32 v3, s1
	s_and_saveexec_b32 s1, vcc_lo
; %bb.2:
	v_add_nc_u32_e32 v3, -4, v2
	ds_load_b32 v3, v3
; %bb.3:
	s_or_b32 exec_lo, exec_lo, s1
	v_cmp_gt_u32_e32 vcc_lo, s0, v0
	s_wait_dscnt 0x0
	v_cndmask_b32_e32 v3, 0, v3, vcc_lo
	s_branch .LBB102_8
.LBB102_4:
                                        ; implicit-def: $vgpr3
	s_cbranch_execz .LBB102_8
; %bb.5:
	v_cmp_ne_u32_e32 vcc_lo, 0, v0
	s_wait_kmcnt 0x0
	v_cmp_gt_u32_e64 s0, s0, v0
	v_mov_b32_e32 v3, 0
	s_wait_loadcnt 0x0
	ds_store_b32 v2, v1
	s_wait_dscnt 0x0
	s_barrier_signal -1
	s_and_b32 s1, vcc_lo, s0
	s_barrier_wait -1
	s_and_saveexec_b32 s0, s1
; %bb.6:
	v_add_nc_u32_e32 v2, -4, v2
	ds_load_b32 v3, v2
; %bb.7:
	s_or_b32 exec_lo, exec_lo, s0
.LBB102_8:
	s_wait_loadcnt_dscnt 0x0
	s_delay_alu instid0(VALU_DEP_1)
	v_cmp_ne_u32_e32 vcc_lo, v1, v3
	s_wait_kmcnt 0x0
	s_add_nc_u64 s[0:1], s[8:9], s[2:3]
	v_cndmask_b32_e64 v1, 0, 1, vcc_lo
	global_store_b32 v0, v1, s[0:1] scale_offset
	s_endpgm
	.section	.rodata,"a",@progbits
	.p2align	6, 0x0
	.amdhsa_kernel _Z33subtract_left_partial_tile_kernelIibi10custom_op1Lj256ELj1EEvPKT_PiPT1_
		.amdhsa_group_segment_fixed_size 2048
		.amdhsa_private_segment_fixed_size 0
		.amdhsa_kernarg_size 24
		.amdhsa_user_sgpr_count 2
		.amdhsa_user_sgpr_dispatch_ptr 0
		.amdhsa_user_sgpr_queue_ptr 0
		.amdhsa_user_sgpr_kernarg_segment_ptr 1
		.amdhsa_user_sgpr_dispatch_id 0
		.amdhsa_user_sgpr_kernarg_preload_length 0
		.amdhsa_user_sgpr_kernarg_preload_offset 0
		.amdhsa_user_sgpr_private_segment_size 0
		.amdhsa_wavefront_size32 1
		.amdhsa_uses_dynamic_stack 0
		.amdhsa_enable_private_segment 0
		.amdhsa_system_sgpr_workgroup_id_x 1
		.amdhsa_system_sgpr_workgroup_id_y 0
		.amdhsa_system_sgpr_workgroup_id_z 0
		.amdhsa_system_sgpr_workgroup_info 0
		.amdhsa_system_vgpr_workitem_id 0
		.amdhsa_next_free_vgpr 4
		.amdhsa_next_free_sgpr 13
		.amdhsa_named_barrier_count 0
		.amdhsa_reserve_vcc 1
		.amdhsa_float_round_mode_32 0
		.amdhsa_float_round_mode_16_64 0
		.amdhsa_float_denorm_mode_32 3
		.amdhsa_float_denorm_mode_16_64 3
		.amdhsa_fp16_overflow 0
		.amdhsa_memory_ordered 1
		.amdhsa_forward_progress 1
		.amdhsa_inst_pref_size 3
		.amdhsa_round_robin_scheduling 0
		.amdhsa_exception_fp_ieee_invalid_op 0
		.amdhsa_exception_fp_denorm_src 0
		.amdhsa_exception_fp_ieee_div_zero 0
		.amdhsa_exception_fp_ieee_overflow 0
		.amdhsa_exception_fp_ieee_underflow 0
		.amdhsa_exception_fp_ieee_inexact 0
		.amdhsa_exception_int_div_zero 0
	.end_amdhsa_kernel
	.section	.text._Z33subtract_left_partial_tile_kernelIibi10custom_op1Lj256ELj1EEvPKT_PiPT1_,"axG",@progbits,_Z33subtract_left_partial_tile_kernelIibi10custom_op1Lj256ELj1EEvPKT_PiPT1_,comdat
.Lfunc_end102:
	.size	_Z33subtract_left_partial_tile_kernelIibi10custom_op1Lj256ELj1EEvPKT_PiPT1_, .Lfunc_end102-_Z33subtract_left_partial_tile_kernelIibi10custom_op1Lj256ELj1EEvPKT_PiPT1_
                                        ; -- End function
	.set _Z33subtract_left_partial_tile_kernelIibi10custom_op1Lj256ELj1EEvPKT_PiPT1_.num_vgpr, 4
	.set _Z33subtract_left_partial_tile_kernelIibi10custom_op1Lj256ELj1EEvPKT_PiPT1_.num_agpr, 0
	.set _Z33subtract_left_partial_tile_kernelIibi10custom_op1Lj256ELj1EEvPKT_PiPT1_.numbered_sgpr, 13
	.set _Z33subtract_left_partial_tile_kernelIibi10custom_op1Lj256ELj1EEvPKT_PiPT1_.num_named_barrier, 0
	.set _Z33subtract_left_partial_tile_kernelIibi10custom_op1Lj256ELj1EEvPKT_PiPT1_.private_seg_size, 0
	.set _Z33subtract_left_partial_tile_kernelIibi10custom_op1Lj256ELj1EEvPKT_PiPT1_.uses_vcc, 1
	.set _Z33subtract_left_partial_tile_kernelIibi10custom_op1Lj256ELj1EEvPKT_PiPT1_.uses_flat_scratch, 0
	.set _Z33subtract_left_partial_tile_kernelIibi10custom_op1Lj256ELj1EEvPKT_PiPT1_.has_dyn_sized_stack, 0
	.set _Z33subtract_left_partial_tile_kernelIibi10custom_op1Lj256ELj1EEvPKT_PiPT1_.has_recursion, 0
	.set _Z33subtract_left_partial_tile_kernelIibi10custom_op1Lj256ELj1EEvPKT_PiPT1_.has_indirect_call, 0
	.section	.AMDGPU.csdata,"",@progbits
; Kernel info:
; codeLenInByte = 308
; TotalNumSgprs: 15
; NumVgprs: 4
; ScratchSize: 0
; MemoryBound: 0
; FloatMode: 240
; IeeeMode: 1
; LDSByteSize: 2048 bytes/workgroup (compile time only)
; SGPRBlocks: 0
; VGPRBlocks: 0
; NumSGPRsForWavesPerEU: 15
; NumVGPRsForWavesPerEU: 4
; NamedBarCnt: 0
; Occupancy: 16
; WaveLimiterHint : 0
; COMPUTE_PGM_RSRC2:SCRATCH_EN: 0
; COMPUTE_PGM_RSRC2:USER_SGPR: 2
; COMPUTE_PGM_RSRC2:TRAP_HANDLER: 0
; COMPUTE_PGM_RSRC2:TGID_X_EN: 1
; COMPUTE_PGM_RSRC2:TGID_Y_EN: 0
; COMPUTE_PGM_RSRC2:TGID_Z_EN: 0
; COMPUTE_PGM_RSRC2:TIDIG_COMP_CNT: 0
	.section	.text._Z33subtract_left_partial_tile_kernelI12hip_bfloat16ii10custom_op2Lj256ELj1EEvPKT_PiPT1_,"axG",@progbits,_Z33subtract_left_partial_tile_kernelI12hip_bfloat16ii10custom_op2Lj256ELj1EEvPKT_PiPT1_,comdat
	.protected	_Z33subtract_left_partial_tile_kernelI12hip_bfloat16ii10custom_op2Lj256ELj1EEvPKT_PiPT1_ ; -- Begin function _Z33subtract_left_partial_tile_kernelI12hip_bfloat16ii10custom_op2Lj256ELj1EEvPKT_PiPT1_
	.globl	_Z33subtract_left_partial_tile_kernelI12hip_bfloat16ii10custom_op2Lj256ELj1EEvPKT_PiPT1_
	.p2align	8
	.type	_Z33subtract_left_partial_tile_kernelI12hip_bfloat16ii10custom_op2Lj256ELj1EEvPKT_PiPT1_,@function
_Z33subtract_left_partial_tile_kernelI12hip_bfloat16ii10custom_op2Lj256ELj1EEvPKT_PiPT1_: ; @_Z33subtract_left_partial_tile_kernelI12hip_bfloat16ii10custom_op2Lj256ELj1EEvPKT_PiPT1_
; %bb.0:
	s_load_b128 s[4:7], s[0:1], 0x0
	s_bfe_u32 s2, ttmp6, 0x4000c
	s_and_b32 s3, ttmp6, 15
	s_add_co_i32 s2, s2, 1
	s_getreg_b32 s8, hwreg(HW_REG_IB_STS2, 6, 4)
	s_mul_i32 s2, ttmp9, s2
	v_lshlrev_b32_e32 v1, 1, v0
	s_add_co_i32 s3, s3, s2
	s_cmp_eq_u32 s8, 0
	s_load_b64 s[8:9], s[0:1], 0x10
	s_cselect_b32 s12, ttmp9, s3
	s_mov_b32 s3, 0
	s_lshl_b32 s2, s12, 8
	v_cmp_ne_u32_e32 vcc_lo, 0, v0
	s_lshl_b64 s[10:11], s[2:3], 1
	s_bitcmp0_b32 s12, 0
	s_wait_kmcnt 0x0
	s_add_nc_u64 s[0:1], s[4:5], s[10:11]
	global_load_u16 v2, v0, s[0:1] scale_offset
	s_wait_xcnt 0x0
	s_load_b32 s0, s[6:7], s12 offset:0x0 scale_offset
	s_cbranch_scc1 .LBB103_14
; %bb.1:
	s_add_co_i32 s1, s2, -1
	s_wait_loadcnt 0x0
	ds_store_b16 v1, v2
	v_mov_b32_e32 v3, s1
	global_load_u16 v4, v3, s[4:5] scale_offset
	s_wait_loadcnt_dscnt 0x0
	s_barrier_signal -1
	s_barrier_wait -1
	s_and_saveexec_b32 s1, vcc_lo
; %bb.2:
	v_add_nc_u32_e32 v3, -2, v1
	ds_load_u16 v4, v3
; %bb.3:
	s_or_b32 exec_lo, exec_lo, s1
	v_lshlrev_b32_e32 v3, 16, v2
	s_mov_b32 s1, exec_lo
	s_wait_kmcnt 0x0
	v_cmpx_gt_u32_e64 s0, v0
	s_cbranch_execz .LBB103_13
; %bb.4:
	s_wait_dscnt 0x0
	v_lshlrev_b32_e32 v4, 16, v4
	s_delay_alu instid0(VALU_DEP_1) | instskip(NEXT) | instid1(VALU_DEP_1)
	v_add_f32_e32 v4, v4, v4
	v_and_b32_e32 v5, 0x7f800000, v4
	s_delay_alu instid0(VALU_DEP_1) | instskip(SKIP_1) | instid1(SALU_CYCLE_1)
	v_cmp_ne_u32_e32 vcc_lo, 0x7f800000, v5
                                        ; implicit-def: $vgpr5
	s_and_saveexec_b32 s4, vcc_lo
	s_xor_b32 s4, exec_lo, s4
; %bb.5:
	v_bfe_u32 v5, v4, 16, 1
	s_delay_alu instid0(VALU_DEP_1)
	v_add3_u32 v5, v4, v5, 0x7fff
                                        ; implicit-def: $vgpr4
; %bb.6:
	s_and_not1_saveexec_b32 s4, s4
; %bb.7:
	v_and_b32_e32 v5, 0xffff, v4
	v_or_b32_e32 v6, 0x10000, v4
	s_delay_alu instid0(VALU_DEP_2) | instskip(NEXT) | instid1(VALU_DEP_2)
	v_cmp_eq_u32_e32 vcc_lo, 0, v5
	v_cndmask_b32_e32 v5, v6, v4, vcc_lo
; %bb.8:
	s_or_b32 exec_lo, exec_lo, s4
	s_delay_alu instid0(VALU_DEP_1) | instskip(NEXT) | instid1(VALU_DEP_1)
	v_and_b32_e32 v4, 0xffff0000, v5
	v_sub_f32_e32 v3, v4, v3
	s_delay_alu instid0(VALU_DEP_1) | instskip(NEXT) | instid1(VALU_DEP_1)
	v_and_b32_e32 v4, 0x7f800000, v3
	v_cmp_ne_u32_e32 vcc_lo, 0x7f800000, v4
                                        ; implicit-def: $vgpr4
	s_and_saveexec_b32 s4, vcc_lo
	s_delay_alu instid0(SALU_CYCLE_1)
	s_xor_b32 s4, exec_lo, s4
; %bb.9:
	v_bfe_u32 v4, v3, 16, 1
	s_delay_alu instid0(VALU_DEP_1)
	v_add3_u32 v4, v3, v4, 0x7fff
                                        ; implicit-def: $vgpr3
; %bb.10:
	s_and_not1_saveexec_b32 s4, s4
; %bb.11:
	v_and_b32_e32 v4, 0xffff, v3
	v_or_b32_e32 v5, 0x10000, v3
	s_delay_alu instid0(VALU_DEP_2) | instskip(NEXT) | instid1(VALU_DEP_2)
	v_cmp_eq_u32_e32 vcc_lo, 0, v4
	v_cndmask_b32_e32 v4, v5, v3, vcc_lo
; %bb.12:
	s_or_b32 exec_lo, exec_lo, s4
	s_delay_alu instid0(VALU_DEP_1)
	v_and_b32_e32 v3, 0xffff0000, v4
.LBB103_13:
	s_or_b32 exec_lo, exec_lo, s1
	s_branch .LBB103_26
.LBB103_14:
                                        ; implicit-def: $vgpr3
	s_cbranch_execz .LBB103_26
; %bb.15:
	v_cmp_ne_u32_e32 vcc_lo, 0, v0
	s_wait_kmcnt 0x0
	v_cmp_gt_u32_e64 s0, s0, v0
	s_wait_loadcnt 0x0
	v_lshlrev_b32_e32 v3, 16, v2
	ds_store_b16 v1, v2
	s_wait_dscnt 0x0
	s_barrier_signal -1
	s_and_b32 s1, vcc_lo, s0
	s_barrier_wait -1
	s_and_saveexec_b32 s0, s1
	s_cbranch_execz .LBB103_25
; %bb.16:
	v_add_nc_u32_e32 v1, -2, v1
	ds_load_u16 v1, v1
	s_wait_dscnt 0x0
	v_lshlrev_b32_e32 v1, 16, v1
	s_delay_alu instid0(VALU_DEP_1) | instskip(NEXT) | instid1(VALU_DEP_1)
	v_add_f32_e32 v1, v1, v1
	v_and_b32_e32 v2, 0x7f800000, v1
	s_delay_alu instid0(VALU_DEP_1) | instskip(SKIP_1) | instid1(SALU_CYCLE_1)
	v_cmp_ne_u32_e32 vcc_lo, 0x7f800000, v2
                                        ; implicit-def: $vgpr2
	s_and_saveexec_b32 s1, vcc_lo
	s_xor_b32 s1, exec_lo, s1
; %bb.17:
	v_bfe_u32 v2, v1, 16, 1
	s_delay_alu instid0(VALU_DEP_1)
	v_add3_u32 v2, v1, v2, 0x7fff
                                        ; implicit-def: $vgpr1
; %bb.18:
	s_and_not1_saveexec_b32 s1, s1
; %bb.19:
	v_and_b32_e32 v2, 0xffff, v1
	v_or_b32_e32 v4, 0x10000, v1
	s_delay_alu instid0(VALU_DEP_2) | instskip(NEXT) | instid1(VALU_DEP_2)
	v_cmp_eq_u32_e32 vcc_lo, 0, v2
	v_cndmask_b32_e32 v2, v4, v1, vcc_lo
; %bb.20:
	s_or_b32 exec_lo, exec_lo, s1
	s_delay_alu instid0(VALU_DEP_1) | instskip(NEXT) | instid1(VALU_DEP_1)
	v_and_b32_e32 v1, 0xffff0000, v2
	v_sub_f32_e32 v1, v1, v3
	s_delay_alu instid0(VALU_DEP_1) | instskip(NEXT) | instid1(VALU_DEP_1)
	v_and_b32_e32 v2, 0x7f800000, v1
	v_cmp_ne_u32_e32 vcc_lo, 0x7f800000, v2
                                        ; implicit-def: $vgpr2
	s_and_saveexec_b32 s1, vcc_lo
	s_delay_alu instid0(SALU_CYCLE_1)
	s_xor_b32 s1, exec_lo, s1
; %bb.21:
	v_bfe_u32 v2, v1, 16, 1
	s_delay_alu instid0(VALU_DEP_1)
	v_add3_u32 v2, v1, v2, 0x7fff
                                        ; implicit-def: $vgpr1
; %bb.22:
	s_and_not1_saveexec_b32 s1, s1
; %bb.23:
	v_and_b32_e32 v2, 0xffff, v1
	v_or_b32_e32 v3, 0x10000, v1
	s_delay_alu instid0(VALU_DEP_2) | instskip(NEXT) | instid1(VALU_DEP_2)
	v_cmp_eq_u32_e32 vcc_lo, 0, v2
	v_cndmask_b32_e32 v2, v3, v1, vcc_lo
; %bb.24:
	s_or_b32 exec_lo, exec_lo, s1
	s_delay_alu instid0(VALU_DEP_1)
	v_and_b32_e32 v3, 0xffff0000, v2
.LBB103_25:
	s_or_b32 exec_lo, exec_lo, s0
.LBB103_26:
	s_delay_alu instid0(VALU_DEP_1) | instskip(SKIP_2) | instid1(SALU_CYCLE_1)
	v_cvt_i32_f32_e32 v1, v3
	s_wait_kmcnt 0x0
	s_lshl_b64 s[0:1], s[2:3], 2
	s_add_nc_u64 s[0:1], s[8:9], s[0:1]
	global_store_b32 v0, v1, s[0:1] scale_offset
	s_endpgm
	.section	.rodata,"a",@progbits
	.p2align	6, 0x0
	.amdhsa_kernel _Z33subtract_left_partial_tile_kernelI12hip_bfloat16ii10custom_op2Lj256ELj1EEvPKT_PiPT1_
		.amdhsa_group_segment_fixed_size 1024
		.amdhsa_private_segment_fixed_size 0
		.amdhsa_kernarg_size 24
		.amdhsa_user_sgpr_count 2
		.amdhsa_user_sgpr_dispatch_ptr 0
		.amdhsa_user_sgpr_queue_ptr 0
		.amdhsa_user_sgpr_kernarg_segment_ptr 1
		.amdhsa_user_sgpr_dispatch_id 0
		.amdhsa_user_sgpr_kernarg_preload_length 0
		.amdhsa_user_sgpr_kernarg_preload_offset 0
		.amdhsa_user_sgpr_private_segment_size 0
		.amdhsa_wavefront_size32 1
		.amdhsa_uses_dynamic_stack 0
		.amdhsa_enable_private_segment 0
		.amdhsa_system_sgpr_workgroup_id_x 1
		.amdhsa_system_sgpr_workgroup_id_y 0
		.amdhsa_system_sgpr_workgroup_id_z 0
		.amdhsa_system_sgpr_workgroup_info 0
		.amdhsa_system_vgpr_workitem_id 0
		.amdhsa_next_free_vgpr 7
		.amdhsa_next_free_sgpr 13
		.amdhsa_named_barrier_count 0
		.amdhsa_reserve_vcc 1
		.amdhsa_float_round_mode_32 0
		.amdhsa_float_round_mode_16_64 0
		.amdhsa_float_denorm_mode_32 3
		.amdhsa_float_denorm_mode_16_64 3
		.amdhsa_fp16_overflow 0
		.amdhsa_memory_ordered 1
		.amdhsa_forward_progress 1
		.amdhsa_inst_pref_size 6
		.amdhsa_round_robin_scheduling 0
		.amdhsa_exception_fp_ieee_invalid_op 0
		.amdhsa_exception_fp_denorm_src 0
		.amdhsa_exception_fp_ieee_div_zero 0
		.amdhsa_exception_fp_ieee_overflow 0
		.amdhsa_exception_fp_ieee_underflow 0
		.amdhsa_exception_fp_ieee_inexact 0
		.amdhsa_exception_int_div_zero 0
	.end_amdhsa_kernel
	.section	.text._Z33subtract_left_partial_tile_kernelI12hip_bfloat16ii10custom_op2Lj256ELj1EEvPKT_PiPT1_,"axG",@progbits,_Z33subtract_left_partial_tile_kernelI12hip_bfloat16ii10custom_op2Lj256ELj1EEvPKT_PiPT1_,comdat
.Lfunc_end103:
	.size	_Z33subtract_left_partial_tile_kernelI12hip_bfloat16ii10custom_op2Lj256ELj1EEvPKT_PiPT1_, .Lfunc_end103-_Z33subtract_left_partial_tile_kernelI12hip_bfloat16ii10custom_op2Lj256ELj1EEvPKT_PiPT1_
                                        ; -- End function
	.set _Z33subtract_left_partial_tile_kernelI12hip_bfloat16ii10custom_op2Lj256ELj1EEvPKT_PiPT1_.num_vgpr, 7
	.set _Z33subtract_left_partial_tile_kernelI12hip_bfloat16ii10custom_op2Lj256ELj1EEvPKT_PiPT1_.num_agpr, 0
	.set _Z33subtract_left_partial_tile_kernelI12hip_bfloat16ii10custom_op2Lj256ELj1EEvPKT_PiPT1_.numbered_sgpr, 13
	.set _Z33subtract_left_partial_tile_kernelI12hip_bfloat16ii10custom_op2Lj256ELj1EEvPKT_PiPT1_.num_named_barrier, 0
	.set _Z33subtract_left_partial_tile_kernelI12hip_bfloat16ii10custom_op2Lj256ELj1EEvPKT_PiPT1_.private_seg_size, 0
	.set _Z33subtract_left_partial_tile_kernelI12hip_bfloat16ii10custom_op2Lj256ELj1EEvPKT_PiPT1_.uses_vcc, 1
	.set _Z33subtract_left_partial_tile_kernelI12hip_bfloat16ii10custom_op2Lj256ELj1EEvPKT_PiPT1_.uses_flat_scratch, 0
	.set _Z33subtract_left_partial_tile_kernelI12hip_bfloat16ii10custom_op2Lj256ELj1EEvPKT_PiPT1_.has_dyn_sized_stack, 0
	.set _Z33subtract_left_partial_tile_kernelI12hip_bfloat16ii10custom_op2Lj256ELj1EEvPKT_PiPT1_.has_recursion, 0
	.set _Z33subtract_left_partial_tile_kernelI12hip_bfloat16ii10custom_op2Lj256ELj1EEvPKT_PiPT1_.has_indirect_call, 0
	.section	.AMDGPU.csdata,"",@progbits
; Kernel info:
; codeLenInByte = 768
; TotalNumSgprs: 15
; NumVgprs: 7
; ScratchSize: 0
; MemoryBound: 0
; FloatMode: 240
; IeeeMode: 1
; LDSByteSize: 1024 bytes/workgroup (compile time only)
; SGPRBlocks: 0
; VGPRBlocks: 0
; NumSGPRsForWavesPerEU: 15
; NumVGPRsForWavesPerEU: 7
; NamedBarCnt: 0
; Occupancy: 16
; WaveLimiterHint : 0
; COMPUTE_PGM_RSRC2:SCRATCH_EN: 0
; COMPUTE_PGM_RSRC2:USER_SGPR: 2
; COMPUTE_PGM_RSRC2:TRAP_HANDLER: 0
; COMPUTE_PGM_RSRC2:TGID_X_EN: 1
; COMPUTE_PGM_RSRC2:TGID_Y_EN: 0
; COMPUTE_PGM_RSRC2:TGID_Z_EN: 0
; COMPUTE_PGM_RSRC2:TIDIG_COMP_CNT: 0
	.section	.text._Z33subtract_left_partial_tile_kernelI6__halfii10custom_op1Lj256ELj1EEvPKT_PiPT1_,"axG",@progbits,_Z33subtract_left_partial_tile_kernelI6__halfii10custom_op1Lj256ELj1EEvPKT_PiPT1_,comdat
	.protected	_Z33subtract_left_partial_tile_kernelI6__halfii10custom_op1Lj256ELj1EEvPKT_PiPT1_ ; -- Begin function _Z33subtract_left_partial_tile_kernelI6__halfii10custom_op1Lj256ELj1EEvPKT_PiPT1_
	.globl	_Z33subtract_left_partial_tile_kernelI6__halfii10custom_op1Lj256ELj1EEvPKT_PiPT1_
	.p2align	8
	.type	_Z33subtract_left_partial_tile_kernelI6__halfii10custom_op1Lj256ELj1EEvPKT_PiPT1_,@function
_Z33subtract_left_partial_tile_kernelI6__halfii10custom_op1Lj256ELj1EEvPKT_PiPT1_: ; @_Z33subtract_left_partial_tile_kernelI6__halfii10custom_op1Lj256ELj1EEvPKT_PiPT1_
; %bb.0:
	s_load_b128 s[4:7], s[0:1], 0x0
	s_bfe_u32 s2, ttmp6, 0x4000c
	s_and_b32 s3, ttmp6, 15
	s_add_co_i32 s2, s2, 1
	s_getreg_b32 s8, hwreg(HW_REG_IB_STS2, 6, 4)
	s_mul_i32 s2, ttmp9, s2
	v_lshlrev_b32_e32 v2, 1, v0
	s_add_co_i32 s3, s3, s2
	s_cmp_eq_u32 s8, 0
	s_load_b64 s[8:9], s[0:1], 0x10
	s_cselect_b32 s12, ttmp9, s3
	s_mov_b32 s3, 0
	s_lshl_b32 s2, s12, 8
	v_cmp_ne_u32_e32 vcc_lo, 0, v0
	s_lshl_b64 s[10:11], s[2:3], 1
	s_bitcmp0_b32 s12, 0
	s_wait_kmcnt 0x0
	s_add_nc_u64 s[0:1], s[4:5], s[10:11]
	global_load_u16 v1, v0, s[0:1] scale_offset
	s_wait_xcnt 0x0
	s_load_b32 s0, s[6:7], s12 offset:0x0 scale_offset
	s_cbranch_scc1 .LBB104_4
; %bb.1:
	s_add_co_i32 s1, s2, -1
	s_wait_loadcnt 0x0
	ds_store_b16 v2, v1
	v_mov_b32_e32 v3, s1
	global_load_u16 v3, v3, s[4:5] scale_offset
	s_wait_loadcnt_dscnt 0x0
	s_barrier_signal -1
	s_barrier_wait -1
	s_and_saveexec_b32 s1, vcc_lo
; %bb.2:
	v_add_nc_u32_e32 v3, -2, v2
	ds_load_u16 v3, v3
; %bb.3:
	s_or_b32 exec_lo, exec_lo, s1
	s_wait_dscnt 0x0
	v_sub_f16_e32 v3, v1, v3
	s_wait_kmcnt 0x0
	v_cmp_gt_u32_e32 vcc_lo, s0, v0
	s_delay_alu instid0(VALU_DEP_2)
	v_cndmask_b32_e32 v3, v1, v3, vcc_lo
	s_branch .LBB104_8
.LBB104_4:
                                        ; implicit-def: $vgpr3
	s_cbranch_execz .LBB104_8
; %bb.5:
	v_cmp_ne_u32_e32 vcc_lo, 0, v0
	s_wait_kmcnt 0x0
	v_cmp_gt_u32_e64 s0, s0, v0
	s_wait_loadcnt 0x0
	ds_store_b16 v2, v1
	s_wait_dscnt 0x0
	s_barrier_signal -1
	s_barrier_wait -1
	s_and_b32 s1, vcc_lo, s0
	s_delay_alu instid0(SALU_CYCLE_1)
	s_and_saveexec_b32 s0, s1
	s_cbranch_execz .LBB104_7
; %bb.6:
	v_add_nc_u32_e32 v2, -2, v2
	ds_load_u16 v2, v2
	s_wait_dscnt 0x0
	v_sub_f16_e32 v1, v1, v2
.LBB104_7:
	s_or_b32 exec_lo, exec_lo, s0
	s_delay_alu instid0(VALU_DEP_1)
	v_mov_b32_e32 v3, v1
.LBB104_8:
	s_wait_loadcnt 0x0
	s_delay_alu instid0(VALU_DEP_1) | instskip(SKIP_2) | instid1(SALU_CYCLE_1)
	v_cvt_f32_f16_e32 v1, v3
	s_wait_kmcnt 0x0
	s_lshl_b64 s[0:1], s[2:3], 2
	s_add_nc_u64 s[0:1], s[8:9], s[0:1]
	s_delay_alu instid0(VALU_DEP_1)
	v_cvt_i32_f32_e32 v1, v1
	global_store_b32 v0, v1, s[0:1] scale_offset
	s_endpgm
	.section	.rodata,"a",@progbits
	.p2align	6, 0x0
	.amdhsa_kernel _Z33subtract_left_partial_tile_kernelI6__halfii10custom_op1Lj256ELj1EEvPKT_PiPT1_
		.amdhsa_group_segment_fixed_size 1024
		.amdhsa_private_segment_fixed_size 0
		.amdhsa_kernarg_size 24
		.amdhsa_user_sgpr_count 2
		.amdhsa_user_sgpr_dispatch_ptr 0
		.amdhsa_user_sgpr_queue_ptr 0
		.amdhsa_user_sgpr_kernarg_segment_ptr 1
		.amdhsa_user_sgpr_dispatch_id 0
		.amdhsa_user_sgpr_kernarg_preload_length 0
		.amdhsa_user_sgpr_kernarg_preload_offset 0
		.amdhsa_user_sgpr_private_segment_size 0
		.amdhsa_wavefront_size32 1
		.amdhsa_uses_dynamic_stack 0
		.amdhsa_enable_private_segment 0
		.amdhsa_system_sgpr_workgroup_id_x 1
		.amdhsa_system_sgpr_workgroup_id_y 0
		.amdhsa_system_sgpr_workgroup_id_z 0
		.amdhsa_system_sgpr_workgroup_info 0
		.amdhsa_system_vgpr_workitem_id 0
		.amdhsa_next_free_vgpr 4
		.amdhsa_next_free_sgpr 13
		.amdhsa_named_barrier_count 0
		.amdhsa_reserve_vcc 1
		.amdhsa_float_round_mode_32 0
		.amdhsa_float_round_mode_16_64 0
		.amdhsa_float_denorm_mode_32 3
		.amdhsa_float_denorm_mode_16_64 3
		.amdhsa_fp16_overflow 0
		.amdhsa_memory_ordered 1
		.amdhsa_forward_progress 1
		.amdhsa_inst_pref_size 3
		.amdhsa_round_robin_scheduling 0
		.amdhsa_exception_fp_ieee_invalid_op 0
		.amdhsa_exception_fp_denorm_src 0
		.amdhsa_exception_fp_ieee_div_zero 0
		.amdhsa_exception_fp_ieee_overflow 0
		.amdhsa_exception_fp_ieee_underflow 0
		.amdhsa_exception_fp_ieee_inexact 0
		.amdhsa_exception_int_div_zero 0
	.end_amdhsa_kernel
	.section	.text._Z33subtract_left_partial_tile_kernelI6__halfii10custom_op1Lj256ELj1EEvPKT_PiPT1_,"axG",@progbits,_Z33subtract_left_partial_tile_kernelI6__halfii10custom_op1Lj256ELj1EEvPKT_PiPT1_,comdat
.Lfunc_end104:
	.size	_Z33subtract_left_partial_tile_kernelI6__halfii10custom_op1Lj256ELj1EEvPKT_PiPT1_, .Lfunc_end104-_Z33subtract_left_partial_tile_kernelI6__halfii10custom_op1Lj256ELj1EEvPKT_PiPT1_
                                        ; -- End function
	.set _Z33subtract_left_partial_tile_kernelI6__halfii10custom_op1Lj256ELj1EEvPKT_PiPT1_.num_vgpr, 4
	.set _Z33subtract_left_partial_tile_kernelI6__halfii10custom_op1Lj256ELj1EEvPKT_PiPT1_.num_agpr, 0
	.set _Z33subtract_left_partial_tile_kernelI6__halfii10custom_op1Lj256ELj1EEvPKT_PiPT1_.numbered_sgpr, 13
	.set _Z33subtract_left_partial_tile_kernelI6__halfii10custom_op1Lj256ELj1EEvPKT_PiPT1_.num_named_barrier, 0
	.set _Z33subtract_left_partial_tile_kernelI6__halfii10custom_op1Lj256ELj1EEvPKT_PiPT1_.private_seg_size, 0
	.set _Z33subtract_left_partial_tile_kernelI6__halfii10custom_op1Lj256ELj1EEvPKT_PiPT1_.uses_vcc, 1
	.set _Z33subtract_left_partial_tile_kernelI6__halfii10custom_op1Lj256ELj1EEvPKT_PiPT1_.uses_flat_scratch, 0
	.set _Z33subtract_left_partial_tile_kernelI6__halfii10custom_op1Lj256ELj1EEvPKT_PiPT1_.has_dyn_sized_stack, 0
	.set _Z33subtract_left_partial_tile_kernelI6__halfii10custom_op1Lj256ELj1EEvPKT_PiPT1_.has_recursion, 0
	.set _Z33subtract_left_partial_tile_kernelI6__halfii10custom_op1Lj256ELj1EEvPKT_PiPT1_.has_indirect_call, 0
	.section	.AMDGPU.csdata,"",@progbits
; Kernel info:
; codeLenInByte = 344
; TotalNumSgprs: 15
; NumVgprs: 4
; ScratchSize: 0
; MemoryBound: 0
; FloatMode: 240
; IeeeMode: 1
; LDSByteSize: 1024 bytes/workgroup (compile time only)
; SGPRBlocks: 0
; VGPRBlocks: 0
; NumSGPRsForWavesPerEU: 15
; NumVGPRsForWavesPerEU: 4
; NamedBarCnt: 0
; Occupancy: 16
; WaveLimiterHint : 0
; COMPUTE_PGM_RSRC2:SCRATCH_EN: 0
; COMPUTE_PGM_RSRC2:USER_SGPR: 2
; COMPUTE_PGM_RSRC2:TRAP_HANDLER: 0
; COMPUTE_PGM_RSRC2:TGID_X_EN: 1
; COMPUTE_PGM_RSRC2:TGID_Y_EN: 0
; COMPUTE_PGM_RSRC2:TGID_Z_EN: 0
; COMPUTE_PGM_RSRC2:TIDIG_COMP_CNT: 0
	.section	.text._Z33subtract_left_partial_tile_kernelIfii10custom_op2Lj256ELj1EEvPKT_PiPT1_,"axG",@progbits,_Z33subtract_left_partial_tile_kernelIfii10custom_op2Lj256ELj1EEvPKT_PiPT1_,comdat
	.protected	_Z33subtract_left_partial_tile_kernelIfii10custom_op2Lj256ELj1EEvPKT_PiPT1_ ; -- Begin function _Z33subtract_left_partial_tile_kernelIfii10custom_op2Lj256ELj1EEvPKT_PiPT1_
	.globl	_Z33subtract_left_partial_tile_kernelIfii10custom_op2Lj256ELj1EEvPKT_PiPT1_
	.p2align	8
	.type	_Z33subtract_left_partial_tile_kernelIfii10custom_op2Lj256ELj1EEvPKT_PiPT1_,@function
_Z33subtract_left_partial_tile_kernelIfii10custom_op2Lj256ELj1EEvPKT_PiPT1_: ; @_Z33subtract_left_partial_tile_kernelIfii10custom_op2Lj256ELj1EEvPKT_PiPT1_
; %bb.0:
	s_load_b128 s[4:7], s[0:1], 0x0
	s_bfe_u32 s2, ttmp6, 0x4000c
	s_and_b32 s3, ttmp6, 15
	s_add_co_i32 s2, s2, 1
	s_getreg_b32 s8, hwreg(HW_REG_IB_STS2, 6, 4)
	s_mul_i32 s2, ttmp9, s2
	s_mov_b32 s11, 0
	s_add_co_i32 s3, s3, s2
	s_cmp_eq_u32 s8, 0
	s_load_b64 s[8:9], s[0:1], 0x10
	s_cselect_b32 s12, ttmp9, s3
	v_lshlrev_b32_e32 v2, 2, v0
	s_lshl_b32 s10, s12, 8
	v_cmp_ne_u32_e32 vcc_lo, 0, v0
	s_lshl_b64 s[2:3], s[10:11], 2
	s_bitcmp0_b32 s12, 0
	s_wait_kmcnt 0x0
	s_add_nc_u64 s[0:1], s[4:5], s[2:3]
	global_load_b32 v1, v0, s[0:1] scale_offset
	s_wait_xcnt 0x0
	s_load_b32 s0, s[6:7], s12 offset:0x0 scale_offset
	s_cbranch_scc1 .LBB105_5
; %bb.1:
	s_add_co_i32 s1, s10, -1
	s_wait_loadcnt 0x0
	ds_store_b32 v2, v1
	s_load_b32 s1, s[4:5], s1 offset:0x0 scale_offset
	s_wait_dscnt 0x0
	s_barrier_signal -1
	s_barrier_wait -1
	s_wait_kmcnt 0x0
	v_mov_b32_e32 v3, s1
	s_and_saveexec_b32 s1, vcc_lo
; %bb.2:
	v_add_nc_u32_e32 v3, -4, v2
	ds_load_b32 v3, v3
; %bb.3:
	s_or_b32 exec_lo, exec_lo, s1
	s_wait_dscnt 0x0
	v_fma_f32 v3, v3, 2.0, -v1
	v_cmp_gt_u32_e32 vcc_lo, s0, v0
	s_delay_alu instid0(VALU_DEP_2)
	v_cndmask_b32_e32 v3, v1, v3, vcc_lo
.LBB105_4:
	s_wait_loadcnt 0x0
	s_delay_alu instid0(VALU_DEP_1)
	v_cvt_i32_f32_e32 v1, v3
	s_wait_kmcnt 0x0
	s_add_nc_u64 s[0:1], s[8:9], s[2:3]
	global_store_b32 v0, v1, s[0:1] scale_offset
	s_endpgm
.LBB105_5:
                                        ; implicit-def: $vgpr3
	s_cbranch_execz .LBB105_4
; %bb.6:
	v_cmp_ne_u32_e32 vcc_lo, 0, v0
	s_wait_kmcnt 0x0
	v_cmp_gt_u32_e64 s0, s0, v0
	s_wait_loadcnt 0x0
	ds_store_b32 v2, v1
	s_wait_dscnt 0x0
	s_barrier_signal -1
	s_barrier_wait -1
	s_and_b32 s1, vcc_lo, s0
	s_delay_alu instid0(SALU_CYCLE_1)
	s_and_saveexec_b32 s0, s1
	s_cbranch_execz .LBB105_8
; %bb.7:
	v_add_nc_u32_e32 v2, -4, v2
	ds_load_b32 v2, v2
	s_wait_dscnt 0x0
	v_fma_f32 v1, v2, 2.0, -v1
.LBB105_8:
	s_or_b32 exec_lo, exec_lo, s0
	s_delay_alu instid0(VALU_DEP_1) | instskip(NEXT) | instid1(VALU_DEP_1)
	v_mov_b32_e32 v3, v1
	v_cvt_i32_f32_e32 v1, v3
	s_add_nc_u64 s[0:1], s[8:9], s[2:3]
	global_store_b32 v0, v1, s[0:1] scale_offset
	s_endpgm
	.section	.rodata,"a",@progbits
	.p2align	6, 0x0
	.amdhsa_kernel _Z33subtract_left_partial_tile_kernelIfii10custom_op2Lj256ELj1EEvPKT_PiPT1_
		.amdhsa_group_segment_fixed_size 2048
		.amdhsa_private_segment_fixed_size 0
		.amdhsa_kernarg_size 24
		.amdhsa_user_sgpr_count 2
		.amdhsa_user_sgpr_dispatch_ptr 0
		.amdhsa_user_sgpr_queue_ptr 0
		.amdhsa_user_sgpr_kernarg_segment_ptr 1
		.amdhsa_user_sgpr_dispatch_id 0
		.amdhsa_user_sgpr_kernarg_preload_length 0
		.amdhsa_user_sgpr_kernarg_preload_offset 0
		.amdhsa_user_sgpr_private_segment_size 0
		.amdhsa_wavefront_size32 1
		.amdhsa_uses_dynamic_stack 0
		.amdhsa_enable_private_segment 0
		.amdhsa_system_sgpr_workgroup_id_x 1
		.amdhsa_system_sgpr_workgroup_id_y 0
		.amdhsa_system_sgpr_workgroup_id_z 0
		.amdhsa_system_sgpr_workgroup_info 0
		.amdhsa_system_vgpr_workitem_id 0
		.amdhsa_next_free_vgpr 4
		.amdhsa_next_free_sgpr 13
		.amdhsa_named_barrier_count 0
		.amdhsa_reserve_vcc 1
		.amdhsa_float_round_mode_32 0
		.amdhsa_float_round_mode_16_64 0
		.amdhsa_float_denorm_mode_32 3
		.amdhsa_float_denorm_mode_16_64 3
		.amdhsa_fp16_overflow 0
		.amdhsa_memory_ordered 1
		.amdhsa_forward_progress 1
		.amdhsa_inst_pref_size 3
		.amdhsa_round_robin_scheduling 0
		.amdhsa_exception_fp_ieee_invalid_op 0
		.amdhsa_exception_fp_denorm_src 0
		.amdhsa_exception_fp_ieee_div_zero 0
		.amdhsa_exception_fp_ieee_overflow 0
		.amdhsa_exception_fp_ieee_underflow 0
		.amdhsa_exception_fp_ieee_inexact 0
		.amdhsa_exception_int_div_zero 0
	.end_amdhsa_kernel
	.section	.text._Z33subtract_left_partial_tile_kernelIfii10custom_op2Lj256ELj1EEvPKT_PiPT1_,"axG",@progbits,_Z33subtract_left_partial_tile_kernelIfii10custom_op2Lj256ELj1EEvPKT_PiPT1_,comdat
.Lfunc_end105:
	.size	_Z33subtract_left_partial_tile_kernelIfii10custom_op2Lj256ELj1EEvPKT_PiPT1_, .Lfunc_end105-_Z33subtract_left_partial_tile_kernelIfii10custom_op2Lj256ELj1EEvPKT_PiPT1_
                                        ; -- End function
	.set _Z33subtract_left_partial_tile_kernelIfii10custom_op2Lj256ELj1EEvPKT_PiPT1_.num_vgpr, 4
	.set _Z33subtract_left_partial_tile_kernelIfii10custom_op2Lj256ELj1EEvPKT_PiPT1_.num_agpr, 0
	.set _Z33subtract_left_partial_tile_kernelIfii10custom_op2Lj256ELj1EEvPKT_PiPT1_.numbered_sgpr, 13
	.set _Z33subtract_left_partial_tile_kernelIfii10custom_op2Lj256ELj1EEvPKT_PiPT1_.num_named_barrier, 0
	.set _Z33subtract_left_partial_tile_kernelIfii10custom_op2Lj256ELj1EEvPKT_PiPT1_.private_seg_size, 0
	.set _Z33subtract_left_partial_tile_kernelIfii10custom_op2Lj256ELj1EEvPKT_PiPT1_.uses_vcc, 1
	.set _Z33subtract_left_partial_tile_kernelIfii10custom_op2Lj256ELj1EEvPKT_PiPT1_.uses_flat_scratch, 0
	.set _Z33subtract_left_partial_tile_kernelIfii10custom_op2Lj256ELj1EEvPKT_PiPT1_.has_dyn_sized_stack, 0
	.set _Z33subtract_left_partial_tile_kernelIfii10custom_op2Lj256ELj1EEvPKT_PiPT1_.has_recursion, 0
	.set _Z33subtract_left_partial_tile_kernelIfii10custom_op2Lj256ELj1EEvPKT_PiPT1_.has_indirect_call, 0
	.section	.AMDGPU.csdata,"",@progbits
; Kernel info:
; codeLenInByte = 356
; TotalNumSgprs: 15
; NumVgprs: 4
; ScratchSize: 0
; MemoryBound: 0
; FloatMode: 240
; IeeeMode: 1
; LDSByteSize: 2048 bytes/workgroup (compile time only)
; SGPRBlocks: 0
; VGPRBlocks: 0
; NumSGPRsForWavesPerEU: 15
; NumVGPRsForWavesPerEU: 4
; NamedBarCnt: 0
; Occupancy: 16
; WaveLimiterHint : 0
; COMPUTE_PGM_RSRC2:SCRATCH_EN: 0
; COMPUTE_PGM_RSRC2:USER_SGPR: 2
; COMPUTE_PGM_RSRC2:TRAP_HANDLER: 0
; COMPUTE_PGM_RSRC2:TGID_X_EN: 1
; COMPUTE_PGM_RSRC2:TGID_Y_EN: 0
; COMPUTE_PGM_RSRC2:TGID_Z_EN: 0
; COMPUTE_PGM_RSRC2:TIDIG_COMP_CNT: 0
	.section	.text._Z33subtract_left_partial_tile_kernelIibi10custom_op1Lj128ELj1EEvPKT_PiPT1_,"axG",@progbits,_Z33subtract_left_partial_tile_kernelIibi10custom_op1Lj128ELj1EEvPKT_PiPT1_,comdat
	.protected	_Z33subtract_left_partial_tile_kernelIibi10custom_op1Lj128ELj1EEvPKT_PiPT1_ ; -- Begin function _Z33subtract_left_partial_tile_kernelIibi10custom_op1Lj128ELj1EEvPKT_PiPT1_
	.globl	_Z33subtract_left_partial_tile_kernelIibi10custom_op1Lj128ELj1EEvPKT_PiPT1_
	.p2align	8
	.type	_Z33subtract_left_partial_tile_kernelIibi10custom_op1Lj128ELj1EEvPKT_PiPT1_,@function
_Z33subtract_left_partial_tile_kernelIibi10custom_op1Lj128ELj1EEvPKT_PiPT1_: ; @_Z33subtract_left_partial_tile_kernelIibi10custom_op1Lj128ELj1EEvPKT_PiPT1_
; %bb.0:
	s_load_b128 s[4:7], s[0:1], 0x0
	s_bfe_u32 s2, ttmp6, 0x4000c
	s_and_b32 s3, ttmp6, 15
	s_add_co_i32 s2, s2, 1
	s_getreg_b32 s8, hwreg(HW_REG_IB_STS2, 6, 4)
	s_mul_i32 s2, ttmp9, s2
	s_mov_b32 s11, 0
	s_add_co_i32 s3, s3, s2
	s_cmp_eq_u32 s8, 0
	s_load_b64 s[8:9], s[0:1], 0x10
	s_cselect_b32 s12, ttmp9, s3
	v_lshlrev_b32_e32 v2, 2, v0
	s_lshl_b32 s10, s12, 7
	v_cmp_ne_u32_e32 vcc_lo, 0, v0
	s_lshl_b64 s[2:3], s[10:11], 2
	s_bitcmp0_b32 s12, 0
	s_wait_kmcnt 0x0
	s_add_nc_u64 s[0:1], s[4:5], s[2:3]
	global_load_b32 v1, v0, s[0:1] scale_offset
	s_wait_xcnt 0x0
	s_load_b32 s0, s[6:7], s12 offset:0x0 scale_offset
	s_cbranch_scc1 .LBB106_4
; %bb.1:
	s_add_co_i32 s1, s10, -1
	s_wait_loadcnt 0x0
	ds_store_b32 v2, v1
	s_load_b32 s1, s[4:5], s1 offset:0x0 scale_offset
	s_wait_dscnt 0x0
	s_barrier_signal -1
	s_barrier_wait -1
	s_wait_kmcnt 0x0
	v_mov_b32_e32 v3, s1
	s_and_saveexec_b32 s1, vcc_lo
; %bb.2:
	v_add_nc_u32_e32 v3, -4, v2
	ds_load_b32 v3, v3
; %bb.3:
	s_or_b32 exec_lo, exec_lo, s1
	v_cmp_gt_u32_e32 vcc_lo, s0, v0
	s_wait_dscnt 0x0
	v_cndmask_b32_e32 v3, 0, v3, vcc_lo
	s_branch .LBB106_8
.LBB106_4:
                                        ; implicit-def: $vgpr3
	s_cbranch_execz .LBB106_8
; %bb.5:
	v_cmp_ne_u32_e32 vcc_lo, 0, v0
	s_wait_kmcnt 0x0
	v_cmp_gt_u32_e64 s0, s0, v0
	v_mov_b32_e32 v3, 0
	s_wait_loadcnt 0x0
	ds_store_b32 v2, v1
	s_wait_dscnt 0x0
	s_barrier_signal -1
	s_and_b32 s1, vcc_lo, s0
	s_barrier_wait -1
	s_and_saveexec_b32 s0, s1
; %bb.6:
	v_add_nc_u32_e32 v2, -4, v2
	ds_load_b32 v3, v2
; %bb.7:
	s_or_b32 exec_lo, exec_lo, s0
.LBB106_8:
	s_wait_loadcnt_dscnt 0x0
	s_delay_alu instid0(VALU_DEP_1)
	v_cmp_ne_u32_e32 vcc_lo, v1, v3
	s_wait_kmcnt 0x0
	s_add_nc_u64 s[0:1], s[8:9], s[2:3]
	v_cndmask_b32_e64 v1, 0, 1, vcc_lo
	global_store_b32 v0, v1, s[0:1] scale_offset
	s_endpgm
	.section	.rodata,"a",@progbits
	.p2align	6, 0x0
	.amdhsa_kernel _Z33subtract_left_partial_tile_kernelIibi10custom_op1Lj128ELj1EEvPKT_PiPT1_
		.amdhsa_group_segment_fixed_size 1024
		.amdhsa_private_segment_fixed_size 0
		.amdhsa_kernarg_size 24
		.amdhsa_user_sgpr_count 2
		.amdhsa_user_sgpr_dispatch_ptr 0
		.amdhsa_user_sgpr_queue_ptr 0
		.amdhsa_user_sgpr_kernarg_segment_ptr 1
		.amdhsa_user_sgpr_dispatch_id 0
		.amdhsa_user_sgpr_kernarg_preload_length 0
		.amdhsa_user_sgpr_kernarg_preload_offset 0
		.amdhsa_user_sgpr_private_segment_size 0
		.amdhsa_wavefront_size32 1
		.amdhsa_uses_dynamic_stack 0
		.amdhsa_enable_private_segment 0
		.amdhsa_system_sgpr_workgroup_id_x 1
		.amdhsa_system_sgpr_workgroup_id_y 0
		.amdhsa_system_sgpr_workgroup_id_z 0
		.amdhsa_system_sgpr_workgroup_info 0
		.amdhsa_system_vgpr_workitem_id 0
		.amdhsa_next_free_vgpr 4
		.amdhsa_next_free_sgpr 13
		.amdhsa_named_barrier_count 0
		.amdhsa_reserve_vcc 1
		.amdhsa_float_round_mode_32 0
		.amdhsa_float_round_mode_16_64 0
		.amdhsa_float_denorm_mode_32 3
		.amdhsa_float_denorm_mode_16_64 3
		.amdhsa_fp16_overflow 0
		.amdhsa_memory_ordered 1
		.amdhsa_forward_progress 1
		.amdhsa_inst_pref_size 3
		.amdhsa_round_robin_scheduling 0
		.amdhsa_exception_fp_ieee_invalid_op 0
		.amdhsa_exception_fp_denorm_src 0
		.amdhsa_exception_fp_ieee_div_zero 0
		.amdhsa_exception_fp_ieee_overflow 0
		.amdhsa_exception_fp_ieee_underflow 0
		.amdhsa_exception_fp_ieee_inexact 0
		.amdhsa_exception_int_div_zero 0
	.end_amdhsa_kernel
	.section	.text._Z33subtract_left_partial_tile_kernelIibi10custom_op1Lj128ELj1EEvPKT_PiPT1_,"axG",@progbits,_Z33subtract_left_partial_tile_kernelIibi10custom_op1Lj128ELj1EEvPKT_PiPT1_,comdat
.Lfunc_end106:
	.size	_Z33subtract_left_partial_tile_kernelIibi10custom_op1Lj128ELj1EEvPKT_PiPT1_, .Lfunc_end106-_Z33subtract_left_partial_tile_kernelIibi10custom_op1Lj128ELj1EEvPKT_PiPT1_
                                        ; -- End function
	.set _Z33subtract_left_partial_tile_kernelIibi10custom_op1Lj128ELj1EEvPKT_PiPT1_.num_vgpr, 4
	.set _Z33subtract_left_partial_tile_kernelIibi10custom_op1Lj128ELj1EEvPKT_PiPT1_.num_agpr, 0
	.set _Z33subtract_left_partial_tile_kernelIibi10custom_op1Lj128ELj1EEvPKT_PiPT1_.numbered_sgpr, 13
	.set _Z33subtract_left_partial_tile_kernelIibi10custom_op1Lj128ELj1EEvPKT_PiPT1_.num_named_barrier, 0
	.set _Z33subtract_left_partial_tile_kernelIibi10custom_op1Lj128ELj1EEvPKT_PiPT1_.private_seg_size, 0
	.set _Z33subtract_left_partial_tile_kernelIibi10custom_op1Lj128ELj1EEvPKT_PiPT1_.uses_vcc, 1
	.set _Z33subtract_left_partial_tile_kernelIibi10custom_op1Lj128ELj1EEvPKT_PiPT1_.uses_flat_scratch, 0
	.set _Z33subtract_left_partial_tile_kernelIibi10custom_op1Lj128ELj1EEvPKT_PiPT1_.has_dyn_sized_stack, 0
	.set _Z33subtract_left_partial_tile_kernelIibi10custom_op1Lj128ELj1EEvPKT_PiPT1_.has_recursion, 0
	.set _Z33subtract_left_partial_tile_kernelIibi10custom_op1Lj128ELj1EEvPKT_PiPT1_.has_indirect_call, 0
	.section	.AMDGPU.csdata,"",@progbits
; Kernel info:
; codeLenInByte = 308
; TotalNumSgprs: 15
; NumVgprs: 4
; ScratchSize: 0
; MemoryBound: 0
; FloatMode: 240
; IeeeMode: 1
; LDSByteSize: 1024 bytes/workgroup (compile time only)
; SGPRBlocks: 0
; VGPRBlocks: 0
; NumSGPRsForWavesPerEU: 15
; NumVGPRsForWavesPerEU: 4
; NamedBarCnt: 0
; Occupancy: 16
; WaveLimiterHint : 0
; COMPUTE_PGM_RSRC2:SCRATCH_EN: 0
; COMPUTE_PGM_RSRC2:USER_SGPR: 2
; COMPUTE_PGM_RSRC2:TRAP_HANDLER: 0
; COMPUTE_PGM_RSRC2:TGID_X_EN: 1
; COMPUTE_PGM_RSRC2:TGID_Y_EN: 0
; COMPUTE_PGM_RSRC2:TGID_Z_EN: 0
; COMPUTE_PGM_RSRC2:TIDIG_COMP_CNT: 0
	.section	.text._Z33subtract_left_partial_tile_kernelIjiiN6hipcub3SumELj64ELj1EEvPKT_PiPT1_,"axG",@progbits,_Z33subtract_left_partial_tile_kernelIjiiN6hipcub3SumELj64ELj1EEvPKT_PiPT1_,comdat
	.protected	_Z33subtract_left_partial_tile_kernelIjiiN6hipcub3SumELj64ELj1EEvPKT_PiPT1_ ; -- Begin function _Z33subtract_left_partial_tile_kernelIjiiN6hipcub3SumELj64ELj1EEvPKT_PiPT1_
	.globl	_Z33subtract_left_partial_tile_kernelIjiiN6hipcub3SumELj64ELj1EEvPKT_PiPT1_
	.p2align	8
	.type	_Z33subtract_left_partial_tile_kernelIjiiN6hipcub3SumELj64ELj1EEvPKT_PiPT1_,@function
_Z33subtract_left_partial_tile_kernelIjiiN6hipcub3SumELj64ELj1EEvPKT_PiPT1_: ; @_Z33subtract_left_partial_tile_kernelIjiiN6hipcub3SumELj64ELj1EEvPKT_PiPT1_
; %bb.0:
	s_load_b128 s[4:7], s[0:1], 0x0
	s_bfe_u32 s2, ttmp6, 0x4000c
	s_and_b32 s3, ttmp6, 15
	s_add_co_i32 s2, s2, 1
	s_getreg_b32 s8, hwreg(HW_REG_IB_STS2, 6, 4)
	s_mul_i32 s2, ttmp9, s2
	s_mov_b32 s11, 0
	s_add_co_i32 s3, s3, s2
	s_cmp_eq_u32 s8, 0
	s_load_b64 s[8:9], s[0:1], 0x10
	s_cselect_b32 s12, ttmp9, s3
	v_lshlrev_b32_e32 v2, 2, v0
	s_lshl_b32 s10, s12, 6
	v_cmp_ne_u32_e32 vcc_lo, 0, v0
	s_lshl_b64 s[2:3], s[10:11], 2
	s_bitcmp0_b32 s12, 0
	s_wait_kmcnt 0x0
	s_add_nc_u64 s[0:1], s[4:5], s[2:3]
	global_load_b32 v1, v0, s[0:1] scale_offset
	s_wait_xcnt 0x0
	s_load_b32 s0, s[6:7], s12 offset:0x0 scale_offset
	s_cbranch_scc1 .LBB107_5
; %bb.1:
	s_add_co_i32 s1, s10, -1
	s_wait_loadcnt 0x0
	ds_store_b32 v2, v1
	s_load_b32 s1, s[4:5], s1 offset:0x0 scale_offset
	s_wait_dscnt 0x0
	s_barrier_signal -1
	s_barrier_wait -1
	s_wait_kmcnt 0x0
	v_mov_b32_e32 v3, s1
	s_and_saveexec_b32 s1, vcc_lo
; %bb.2:
	v_add_nc_u32_e32 v3, -4, v2
	ds_load_b32 v3, v3
; %bb.3:
	s_or_b32 exec_lo, exec_lo, s1
	v_cmp_gt_u32_e32 vcc_lo, s0, v0
	s_wait_dscnt 0x0
	v_cndmask_b32_e32 v3, 0, v3, vcc_lo
	s_delay_alu instid0(VALU_DEP_1)
	v_add_nc_u32_e32 v3, v3, v1
.LBB107_4:
	s_wait_kmcnt 0x0
	s_add_nc_u64 s[0:1], s[8:9], s[2:3]
	global_store_b32 v0, v3, s[0:1] scale_offset
	s_endpgm
.LBB107_5:
                                        ; implicit-def: $vgpr3
	s_cbranch_execz .LBB107_4
; %bb.6:
	v_cmp_ne_u32_e32 vcc_lo, 0, v0
	s_wait_kmcnt 0x0
	v_cmp_gt_u32_e64 s0, s0, v0
	s_wait_loadcnt 0x0
	ds_store_b32 v2, v1
	s_wait_dscnt 0x0
	s_barrier_signal -1
	s_barrier_wait -1
	s_and_b32 s1, vcc_lo, s0
	s_delay_alu instid0(SALU_CYCLE_1)
	s_and_saveexec_b32 s0, s1
	s_cbranch_execz .LBB107_8
; %bb.7:
	v_add_nc_u32_e32 v2, -4, v2
	ds_load_b32 v2, v2
	s_wait_dscnt 0x0
	v_add_nc_u32_e32 v1, v2, v1
.LBB107_8:
	s_or_b32 exec_lo, exec_lo, s0
	s_delay_alu instid0(VALU_DEP_1)
	v_mov_b32_e32 v3, v1
	s_add_nc_u64 s[0:1], s[8:9], s[2:3]
	global_store_b32 v0, v3, s[0:1] scale_offset
	s_endpgm
	.section	.rodata,"a",@progbits
	.p2align	6, 0x0
	.amdhsa_kernel _Z33subtract_left_partial_tile_kernelIjiiN6hipcub3SumELj64ELj1EEvPKT_PiPT1_
		.amdhsa_group_segment_fixed_size 512
		.amdhsa_private_segment_fixed_size 0
		.amdhsa_kernarg_size 24
		.amdhsa_user_sgpr_count 2
		.amdhsa_user_sgpr_dispatch_ptr 0
		.amdhsa_user_sgpr_queue_ptr 0
		.amdhsa_user_sgpr_kernarg_segment_ptr 1
		.amdhsa_user_sgpr_dispatch_id 0
		.amdhsa_user_sgpr_kernarg_preload_length 0
		.amdhsa_user_sgpr_kernarg_preload_offset 0
		.amdhsa_user_sgpr_private_segment_size 0
		.amdhsa_wavefront_size32 1
		.amdhsa_uses_dynamic_stack 0
		.amdhsa_enable_private_segment 0
		.amdhsa_system_sgpr_workgroup_id_x 1
		.amdhsa_system_sgpr_workgroup_id_y 0
		.amdhsa_system_sgpr_workgroup_id_z 0
		.amdhsa_system_sgpr_workgroup_info 0
		.amdhsa_system_vgpr_workitem_id 0
		.amdhsa_next_free_vgpr 4
		.amdhsa_next_free_sgpr 13
		.amdhsa_named_barrier_count 0
		.amdhsa_reserve_vcc 1
		.amdhsa_float_round_mode_32 0
		.amdhsa_float_round_mode_16_64 0
		.amdhsa_float_denorm_mode_32 3
		.amdhsa_float_denorm_mode_16_64 3
		.amdhsa_fp16_overflow 0
		.amdhsa_memory_ordered 1
		.amdhsa_forward_progress 1
		.amdhsa_inst_pref_size 3
		.amdhsa_round_robin_scheduling 0
		.amdhsa_exception_fp_ieee_invalid_op 0
		.amdhsa_exception_fp_denorm_src 0
		.amdhsa_exception_fp_ieee_div_zero 0
		.amdhsa_exception_fp_ieee_overflow 0
		.amdhsa_exception_fp_ieee_underflow 0
		.amdhsa_exception_fp_ieee_inexact 0
		.amdhsa_exception_int_div_zero 0
	.end_amdhsa_kernel
	.section	.text._Z33subtract_left_partial_tile_kernelIjiiN6hipcub3SumELj64ELj1EEvPKT_PiPT1_,"axG",@progbits,_Z33subtract_left_partial_tile_kernelIjiiN6hipcub3SumELj64ELj1EEvPKT_PiPT1_,comdat
.Lfunc_end107:
	.size	_Z33subtract_left_partial_tile_kernelIjiiN6hipcub3SumELj64ELj1EEvPKT_PiPT1_, .Lfunc_end107-_Z33subtract_left_partial_tile_kernelIjiiN6hipcub3SumELj64ELj1EEvPKT_PiPT1_
                                        ; -- End function
	.set _Z33subtract_left_partial_tile_kernelIjiiN6hipcub3SumELj64ELj1EEvPKT_PiPT1_.num_vgpr, 4
	.set _Z33subtract_left_partial_tile_kernelIjiiN6hipcub3SumELj64ELj1EEvPKT_PiPT1_.num_agpr, 0
	.set _Z33subtract_left_partial_tile_kernelIjiiN6hipcub3SumELj64ELj1EEvPKT_PiPT1_.numbered_sgpr, 13
	.set _Z33subtract_left_partial_tile_kernelIjiiN6hipcub3SumELj64ELj1EEvPKT_PiPT1_.num_named_barrier, 0
	.set _Z33subtract_left_partial_tile_kernelIjiiN6hipcub3SumELj64ELj1EEvPKT_PiPT1_.private_seg_size, 0
	.set _Z33subtract_left_partial_tile_kernelIjiiN6hipcub3SumELj64ELj1EEvPKT_PiPT1_.uses_vcc, 1
	.set _Z33subtract_left_partial_tile_kernelIjiiN6hipcub3SumELj64ELj1EEvPKT_PiPT1_.uses_flat_scratch, 0
	.set _Z33subtract_left_partial_tile_kernelIjiiN6hipcub3SumELj64ELj1EEvPKT_PiPT1_.has_dyn_sized_stack, 0
	.set _Z33subtract_left_partial_tile_kernelIjiiN6hipcub3SumELj64ELj1EEvPKT_PiPT1_.has_recursion, 0
	.set _Z33subtract_left_partial_tile_kernelIjiiN6hipcub3SumELj64ELj1EEvPKT_PiPT1_.has_indirect_call, 0
	.section	.AMDGPU.csdata,"",@progbits
; Kernel info:
; codeLenInByte = 332
; TotalNumSgprs: 15
; NumVgprs: 4
; ScratchSize: 0
; MemoryBound: 0
; FloatMode: 240
; IeeeMode: 1
; LDSByteSize: 512 bytes/workgroup (compile time only)
; SGPRBlocks: 0
; VGPRBlocks: 0
; NumSGPRsForWavesPerEU: 15
; NumVGPRsForWavesPerEU: 4
; NamedBarCnt: 0
; Occupancy: 16
; WaveLimiterHint : 0
; COMPUTE_PGM_RSRC2:SCRATCH_EN: 0
; COMPUTE_PGM_RSRC2:USER_SGPR: 2
; COMPUTE_PGM_RSRC2:TRAP_HANDLER: 0
; COMPUTE_PGM_RSRC2:TGID_X_EN: 1
; COMPUTE_PGM_RSRC2:TGID_Y_EN: 0
; COMPUTE_PGM_RSRC2:TGID_Z_EN: 0
; COMPUTE_PGM_RSRC2:TIDIG_COMP_CNT: 0
	.section	.text._Z21subtract_right_kernelIsbi10custom_op2Lj234ELj9EEvPKT_PT1_,"axG",@progbits,_Z21subtract_right_kernelIsbi10custom_op2Lj234ELj9EEvPKT_PT1_,comdat
	.protected	_Z21subtract_right_kernelIsbi10custom_op2Lj234ELj9EEvPKT_PT1_ ; -- Begin function _Z21subtract_right_kernelIsbi10custom_op2Lj234ELj9EEvPKT_PT1_
	.globl	_Z21subtract_right_kernelIsbi10custom_op2Lj234ELj9EEvPKT_PT1_
	.p2align	8
	.type	_Z21subtract_right_kernelIsbi10custom_op2Lj234ELj9EEvPKT_PT1_,@function
_Z21subtract_right_kernelIsbi10custom_op2Lj234ELj9EEvPKT_PT1_: ; @_Z21subtract_right_kernelIsbi10custom_op2Lj234ELj9EEvPKT_PT1_
; %bb.0:
	s_load_b128 s[4:7], s[0:1], 0x0
	s_wait_xcnt 0x0
	s_bfe_u32 s0, ttmp6, 0x4000c
	s_and_b32 s1, ttmp6, 15
	s_add_co_i32 s0, s0, 1
	s_getreg_b32 s2, hwreg(HW_REG_IB_STS2, 6, 4)
	s_mul_i32 s0, ttmp9, s0
	v_mul_u32_u24_e32 v1, 9, v0
	s_add_co_i32 s1, s1, s0
	s_cmp_eq_u32 s2, 0
	s_mov_b32 s3, 0
	s_cselect_b32 s8, ttmp9, s1
	v_dual_lshlrev_b32 v8, 1, v1 :: v_dual_lshlrev_b32 v15, 1, v0
	s_mul_i32 s2, s8, 0x83a
	s_delay_alu instid0(SALU_CYCLE_1)
	s_lshl_b64 s[0:1], s[2:3], 1
	s_bitcmp1_b32 s8, 0
	s_wait_kmcnt 0x0
	s_add_nc_u64 s[0:1], s[4:5], s[0:1]
	s_clause 0x1
	global_load_b128 v[2:5], v8, s[0:1] offset:2
	global_load_b64 v[6:7], v8, s[0:1]
	s_wait_xcnt 0x0
	s_cselect_b32 s0, -1, 0
	s_delay_alu instid0(SALU_CYCLE_1)
	s_and_b32 vcc_lo, exec_lo, s0
	v_cmp_ne_u32_e64 s0, 0xe9, v0
	s_wait_loadcnt 0x1
	v_pk_lshlrev_b16 v14, 1, v2 op_sel_hi:[0,1]
	v_pk_lshlrev_b16 v12, 1, v3 op_sel_hi:[0,1]
	;; [unrolled: 1-line block ×3, first 2 shown]
	v_dual_lshrrev_b32 v13, 16, v3 :: v_dual_lshrrev_b32 v8, 16, v5
	v_pk_lshlrev_b16 v9, 1, v5 op_sel_hi:[0,1]
	v_lshrrev_b32_e32 v10, 16, v4
	s_cbranch_vccz .LBB108_4
; %bb.1:
	v_dual_lshrrev_b32 v16, 16, v14 :: v_dual_lshrrev_b32 v17, 16, v11
	s_delay_alu instid0(VALU_DEP_3)
	v_dual_lshrrev_b32 v18, 16, v12 :: v_dual_lshrrev_b32 v19, 16, v9
	s_wait_loadcnt 0x0
	ds_store_b16 v15, v6 offset:468
	v_cmp_ne_u16_e32 vcc_lo, v16, v2
	s_wait_dscnt 0x0
	s_barrier_signal -1
	s_barrier_wait -1
	v_cndmask_b32_e64 v16, 0, 1, vcc_lo
	v_cmp_ne_u16_e32 vcc_lo, v17, v4
	v_lshrrev_b32_e32 v2, 16, v2
	s_delay_alu instid0(VALU_DEP_3) | instskip(SKIP_2) | instid1(VALU_DEP_3)
	v_lshlrev_b16 v16, 8, v16
	v_cndmask_b32_e64 v17, 0, 1, vcc_lo
	v_cmp_ne_u16_e32 vcc_lo, v19, v5
	v_lshrrev_b32_e32 v16, 8, v16
	s_delay_alu instid0(VALU_DEP_3) | instskip(SKIP_2) | instid1(VALU_DEP_4)
	v_lshlrev_b16 v17, 8, v17
	v_cndmask_b32_e64 v19, 0, 1, vcc_lo
	v_cmp_ne_u16_e32 vcc_lo, v18, v3
	v_lshlrev_b16 v16, 8, v16
	s_delay_alu instid0(VALU_DEP_4) | instskip(NEXT) | instid1(VALU_DEP_4)
	v_lshrrev_b32_e32 v17, 8, v17
	v_lshlrev_b16 v18, 8, v19
	v_cndmask_b32_e64 v3, 0, 1, vcc_lo
	v_cmp_ne_u16_e32 vcc_lo, v14, v6
	s_delay_alu instid0(VALU_DEP_4) | instskip(NEXT) | instid1(VALU_DEP_4)
	v_lshlrev_b16 v17, 8, v17
	v_lshrrev_b32_e32 v18, 8, v18
	s_delay_alu instid0(VALU_DEP_4) | instskip(SKIP_2) | instid1(VALU_DEP_4)
	v_lshlrev_b16 v3, 8, v3
	v_cndmask_b32_e64 v19, 0, 1, vcc_lo
	v_cmp_ne_u16_e32 vcc_lo, v12, v2
	v_lshlrev_b16 v18, 8, v18
	s_delay_alu instid0(VALU_DEP_3) | instskip(SKIP_2) | instid1(VALU_DEP_3)
	v_dual_lshrrev_b32 v3, 8, v3 :: v_dual_bitop2_b32 v16, v19, v16 bitop3:0x54
	v_cndmask_b32_e64 v2, 0, 1, vcc_lo
	v_cmp_ne_u16_e32 vcc_lo, v11, v13
	v_lshlrev_b16 v3, 8, v3
	s_delay_alu instid0(VALU_DEP_4) | instskip(SKIP_2) | instid1(VALU_DEP_4)
	v_and_b32_e32 v16, 0xffff, v16
	v_cndmask_b32_e64 v20, 0, 1, vcc_lo
	v_cmp_ne_u16_e32 vcc_lo, v9, v10
	v_or_b32_e32 v2, v2, v3
	s_delay_alu instid0(VALU_DEP_3) | instskip(SKIP_2) | instid1(VALU_DEP_2)
	v_or_b32_e32 v3, v20, v17
	v_cndmask_b32_e64 v21, 0, 1, vcc_lo
	v_cmp_ne_u16_e32 vcc_lo, 0, v8
	v_or_b32_e32 v17, v21, v18
	s_delay_alu instid0(VALU_DEP_1) | instskip(SKIP_2) | instid1(VALU_DEP_3)
	v_dual_lshlrev_b32 v17, 16, v17 :: v_dual_lshlrev_b32 v18, 16, v2
	v_and_b32_e32 v19, 0xffff, v3
	v_cndmask_b32_e64 v2, 0, 1, vcc_lo
	v_or_b32_e32 v3, v16, v18
	s_delay_alu instid0(VALU_DEP_3)
	v_or_b32_e32 v16, v19, v17
	s_and_saveexec_b32 s1, s0
	s_cbranch_execz .LBB108_3
; %bb.2:
	ds_load_u16 v2, v15 offset:470
	s_wait_dscnt 0x0
	v_lshlrev_b16 v2, 1, v2
	s_delay_alu instid0(VALU_DEP_1)
	v_cmp_ne_u16_e32 vcc_lo, v2, v8
	v_cndmask_b32_e64 v2, 0, 1, vcc_lo
.LBB108_3:
	s_or_b32 exec_lo, exec_lo, s1
	s_cbranch_execz .LBB108_5
	s_branch .LBB108_8
.LBB108_4:
                                        ; implicit-def: $vgpr2
                                        ; implicit-def: $vgpr16
                                        ; implicit-def: $vgpr3
.LBB108_5:
	s_add_co_i32 s0, s2, 0x83a
	s_wait_loadcnt 0x0
	ds_store_b16 v15, v6 offset:468
	v_mov_b32_e32 v2, s0
	s_mov_b32 s0, exec_lo
	global_load_u16 v2, v2, s[4:5] scale_offset
	s_wait_loadcnt_dscnt 0x0
	s_barrier_signal -1
	s_barrier_wait -1
	v_cmpx_ne_u32_e32 0xe9, v0
; %bb.6:
	ds_load_u16 v2, v15 offset:470
; %bb.7:
	s_or_b32 exec_lo, exec_lo, s0
	v_dual_lshrrev_b32 v0, 16, v6 :: v_dual_lshrrev_b32 v15, 16, v7
	v_dual_lshrrev_b32 v3, 16, v14 :: v_dual_lshrrev_b32 v16, 16, v12
	v_lshrrev_b32_e32 v17, 16, v11
	s_wait_dscnt 0x0
	v_lshlrev_b16 v2, 1, v2
	s_delay_alu instid0(VALU_DEP_3) | instskip(SKIP_3) | instid1(VALU_DEP_2)
	v_cmp_ne_u16_e32 vcc_lo, v3, v0
	v_lshrrev_b32_e32 v3, 16, v9
	v_cndmask_b32_e64 v0, 0, 1, vcc_lo
	v_cmp_ne_u16_e32 vcc_lo, v16, v15
	v_lshlrev_b16 v0, 8, v0
	v_cndmask_b32_e64 v15, 0, 1, vcc_lo
	v_cmp_ne_u16_e32 vcc_lo, v17, v4
	v_cndmask_b32_e64 v4, 0, 1, vcc_lo
	v_cmp_ne_u16_e32 vcc_lo, v3, v5
	s_delay_alu instid0(VALU_DEP_4) | instskip(SKIP_1) | instid1(VALU_DEP_4)
	v_lshlrev_b16 v5, 8, v15
	v_lshrrev_b32_e32 v0, 8, v0
	v_lshlrev_b16 v4, 8, v4
	v_cndmask_b32_e64 v3, 0, 1, vcc_lo
	v_cmp_ne_u16_e32 vcc_lo, v14, v6
	v_lshrrev_b32_e32 v5, 8, v5
	v_lshlrev_b16 v0, 8, v0
	s_delay_alu instid0(VALU_DEP_4)
	v_lshlrev_b16 v3, 8, v3
	v_cndmask_b32_e64 v6, 0, 1, vcc_lo
	v_cmp_ne_u16_e32 vcc_lo, v12, v7
	v_lshlrev_b16 v5, 8, v5
	v_cndmask_b32_e64 v7, 0, 1, vcc_lo
	v_cmp_ne_u16_e32 vcc_lo, v11, v13
	s_delay_alu instid0(VALU_DEP_2) | instskip(SKIP_2) | instid1(VALU_DEP_3)
	v_dual_lshrrev_b32 v4, 8, v4 :: v_dual_bitop2_b32 v5, v7, v5 bitop3:0x54
	v_cndmask_b32_e64 v11, 0, 1, vcc_lo
	v_cmp_ne_u16_e32 vcc_lo, v9, v10
	v_lshlrev_b16 v4, 8, v4
	s_delay_alu instid0(VALU_DEP_4) | instskip(SKIP_2) | instid1(VALU_DEP_3)
	v_dual_lshlrev_b32 v5, 16, v5 :: v_dual_bitop2_b32 v0, v6, v0 bitop3:0x54
	v_cndmask_b32_e64 v9, 0, 1, vcc_lo
	v_cmp_ne_u16_e32 vcc_lo, v2, v8
	v_and_b32_e32 v0, 0xffff, v0
	s_delay_alu instid0(VALU_DEP_3) | instskip(SKIP_2) | instid1(VALU_DEP_3)
	v_or_b32_e32 v3, v9, v3
	v_or_b32_e32 v4, v11, v4
	v_cndmask_b32_e64 v2, 0, 1, vcc_lo
	v_lshlrev_b32_e32 v6, 16, v3
	s_delay_alu instid0(VALU_DEP_3) | instskip(SKIP_1) | instid1(VALU_DEP_2)
	v_and_b32_e32 v4, 0xffff, v4
	v_or_b32_e32 v3, v0, v5
	v_or_b32_e32 v16, v4, v6
.LBB108_8:
	s_wait_loadcnt 0x0
	s_delay_alu instid0(VALU_DEP_2) | instskip(NEXT) | instid1(VALU_DEP_2)
	v_dual_lshlrev_b32 v0, 2, v1 :: v_dual_lshrrev_b32 v7, 24, v3
	v_and_b32_e32 v8, 0xff, v16
	v_bfe_u32 v9, v16, 8, 8
	v_lshrrev_b32_e32 v11, 24, v16
	v_bfe_u32 v10, v16, 16, 8
	s_lshl_b64 s[0:1], s[2:3], 2
	v_and_b32_e32 v4, 0xff, v3
	v_bfe_u32 v5, v3, 8, 8
	v_bfe_u32 v6, v3, 16, 8
	v_and_b32_e32 v2, 0xff, v2
	s_add_nc_u64 s[0:1], s[6:7], s[0:1]
	s_clause 0x2
	global_store_b128 v0, v[8:11], s[0:1] offset:16
	global_store_b128 v0, v[4:7], s[0:1]
	global_store_b32 v1, v2, s[0:1] offset:32 scale_offset
	s_endpgm
	.section	.rodata,"a",@progbits
	.p2align	6, 0x0
	.amdhsa_kernel _Z21subtract_right_kernelIsbi10custom_op2Lj234ELj9EEvPKT_PT1_
		.amdhsa_group_segment_fixed_size 936
		.amdhsa_private_segment_fixed_size 0
		.amdhsa_kernarg_size 16
		.amdhsa_user_sgpr_count 2
		.amdhsa_user_sgpr_dispatch_ptr 0
		.amdhsa_user_sgpr_queue_ptr 0
		.amdhsa_user_sgpr_kernarg_segment_ptr 1
		.amdhsa_user_sgpr_dispatch_id 0
		.amdhsa_user_sgpr_kernarg_preload_length 0
		.amdhsa_user_sgpr_kernarg_preload_offset 0
		.amdhsa_user_sgpr_private_segment_size 0
		.amdhsa_wavefront_size32 1
		.amdhsa_uses_dynamic_stack 0
		.amdhsa_enable_private_segment 0
		.amdhsa_system_sgpr_workgroup_id_x 1
		.amdhsa_system_sgpr_workgroup_id_y 0
		.amdhsa_system_sgpr_workgroup_id_z 0
		.amdhsa_system_sgpr_workgroup_info 0
		.amdhsa_system_vgpr_workitem_id 0
		.amdhsa_next_free_vgpr 22
		.amdhsa_next_free_sgpr 9
		.amdhsa_named_barrier_count 0
		.amdhsa_reserve_vcc 1
		.amdhsa_float_round_mode_32 0
		.amdhsa_float_round_mode_16_64 0
		.amdhsa_float_denorm_mode_32 3
		.amdhsa_float_denorm_mode_16_64 3
		.amdhsa_fp16_overflow 0
		.amdhsa_memory_ordered 1
		.amdhsa_forward_progress 1
		.amdhsa_inst_pref_size 9
		.amdhsa_round_robin_scheduling 0
		.amdhsa_exception_fp_ieee_invalid_op 0
		.amdhsa_exception_fp_denorm_src 0
		.amdhsa_exception_fp_ieee_div_zero 0
		.amdhsa_exception_fp_ieee_overflow 0
		.amdhsa_exception_fp_ieee_underflow 0
		.amdhsa_exception_fp_ieee_inexact 0
		.amdhsa_exception_int_div_zero 0
	.end_amdhsa_kernel
	.section	.text._Z21subtract_right_kernelIsbi10custom_op2Lj234ELj9EEvPKT_PT1_,"axG",@progbits,_Z21subtract_right_kernelIsbi10custom_op2Lj234ELj9EEvPKT_PT1_,comdat
.Lfunc_end108:
	.size	_Z21subtract_right_kernelIsbi10custom_op2Lj234ELj9EEvPKT_PT1_, .Lfunc_end108-_Z21subtract_right_kernelIsbi10custom_op2Lj234ELj9EEvPKT_PT1_
                                        ; -- End function
	.set _Z21subtract_right_kernelIsbi10custom_op2Lj234ELj9EEvPKT_PT1_.num_vgpr, 22
	.set _Z21subtract_right_kernelIsbi10custom_op2Lj234ELj9EEvPKT_PT1_.num_agpr, 0
	.set _Z21subtract_right_kernelIsbi10custom_op2Lj234ELj9EEvPKT_PT1_.numbered_sgpr, 9
	.set _Z21subtract_right_kernelIsbi10custom_op2Lj234ELj9EEvPKT_PT1_.num_named_barrier, 0
	.set _Z21subtract_right_kernelIsbi10custom_op2Lj234ELj9EEvPKT_PT1_.private_seg_size, 0
	.set _Z21subtract_right_kernelIsbi10custom_op2Lj234ELj9EEvPKT_PT1_.uses_vcc, 1
	.set _Z21subtract_right_kernelIsbi10custom_op2Lj234ELj9EEvPKT_PT1_.uses_flat_scratch, 0
	.set _Z21subtract_right_kernelIsbi10custom_op2Lj234ELj9EEvPKT_PT1_.has_dyn_sized_stack, 0
	.set _Z21subtract_right_kernelIsbi10custom_op2Lj234ELj9EEvPKT_PT1_.has_recursion, 0
	.set _Z21subtract_right_kernelIsbi10custom_op2Lj234ELj9EEvPKT_PT1_.has_indirect_call, 0
	.section	.AMDGPU.csdata,"",@progbits
; Kernel info:
; codeLenInByte = 1112
; TotalNumSgprs: 11
; NumVgprs: 22
; ScratchSize: 0
; MemoryBound: 0
; FloatMode: 240
; IeeeMode: 1
; LDSByteSize: 936 bytes/workgroup (compile time only)
; SGPRBlocks: 0
; VGPRBlocks: 1
; NumSGPRsForWavesPerEU: 11
; NumVGPRsForWavesPerEU: 22
; NamedBarCnt: 0
; Occupancy: 16
; WaveLimiterHint : 0
; COMPUTE_PGM_RSRC2:SCRATCH_EN: 0
; COMPUTE_PGM_RSRC2:USER_SGPR: 2
; COMPUTE_PGM_RSRC2:TRAP_HANDLER: 0
; COMPUTE_PGM_RSRC2:TGID_X_EN: 1
; COMPUTE_PGM_RSRC2:TGID_Y_EN: 0
; COMPUTE_PGM_RSRC2:TGID_Z_EN: 0
; COMPUTE_PGM_RSRC2:TIDIG_COMP_CNT: 0
	.section	.text._Z21subtract_right_kernelItii10custom_op1Lj100ELj3EEvPKT_PT1_,"axG",@progbits,_Z21subtract_right_kernelItii10custom_op1Lj100ELj3EEvPKT_PT1_,comdat
	.protected	_Z21subtract_right_kernelItii10custom_op1Lj100ELj3EEvPKT_PT1_ ; -- Begin function _Z21subtract_right_kernelItii10custom_op1Lj100ELj3EEvPKT_PT1_
	.globl	_Z21subtract_right_kernelItii10custom_op1Lj100ELj3EEvPKT_PT1_
	.p2align	8
	.type	_Z21subtract_right_kernelItii10custom_op1Lj100ELj3EEvPKT_PT1_,@function
_Z21subtract_right_kernelItii10custom_op1Lj100ELj3EEvPKT_PT1_: ; @_Z21subtract_right_kernelItii10custom_op1Lj100ELj3EEvPKT_PT1_
; %bb.0:
	s_load_b128 s[4:7], s[0:1], 0x0
	s_wait_xcnt 0x0
	s_bfe_u32 s0, ttmp6, 0x4000c
	s_and_b32 s1, ttmp6, 15
	s_add_co_i32 s0, s0, 1
	s_getreg_b32 s2, hwreg(HW_REG_IB_STS2, 6, 4)
	s_mul_i32 s0, ttmp9, s0
	v_mul_u32_u24_e32 v1, 3, v0
	s_add_co_i32 s1, s1, s0
	s_cmp_eq_u32 s2, 0
	s_mov_b32 s3, 0
	s_cselect_b32 s8, ttmp9, s1
	v_dual_lshlrev_b32 v2, 1, v1 :: v_dual_lshlrev_b32 v7, 1, v0
	s_mul_i32 s2, s8, 0x12c
	s_delay_alu instid0(SALU_CYCLE_1)
	s_lshl_b64 s[0:1], s[2:3], 1
	s_bitcmp1_b32 s8, 0
	s_wait_kmcnt 0x0
	s_add_nc_u64 s[0:1], s[4:5], s[0:1]
	s_clause 0x1
	global_load_b32 v8, v2, s[0:1]
	global_load_u16 v5, v1, s[0:1] offset:4 scale_offset
	s_wait_xcnt 0x0
	s_cselect_b32 s0, -1, 0
	s_delay_alu instid0(SALU_CYCLE_1) | instskip(SKIP_3) | instid1(VALU_DEP_1)
	s_and_b32 vcc_lo, exec_lo, s0
	v_cmp_ne_u32_e64 s0, 0x63, v0
	s_wait_loadcnt 0x1
	v_lshrrev_b32_e32 v2, 16, v8
	v_sub_nc_u16 v3, v8, v2
	s_wait_loadcnt 0x0
	v_sub_nc_u16 v6, v2, v5
	s_delay_alu instid0(VALU_DEP_2)
	v_and_b32_e32 v2, 0xffff, v3
	s_cbranch_vccz .LBB109_4
; %bb.1:
	s_delay_alu instid0(VALU_DEP_2)
	v_and_b32_e32 v3, 0xffff, v6
	v_mov_b32_e32 v4, v5
	ds_store_b16 v7, v8 offset:200
	s_wait_dscnt 0x0
	s_barrier_signal -1
	s_barrier_wait -1
	s_and_saveexec_b32 s1, s0
	s_cbranch_execz .LBB109_3
; %bb.2:
	ds_load_u16 v4, v7 offset:202
	s_wait_dscnt 0x0
	v_sub_nc_u16 v4, v5, v4
	s_delay_alu instid0(VALU_DEP_1)
	v_and_b32_e32 v4, 0xffff, v4
.LBB109_3:
	s_or_b32 exec_lo, exec_lo, s1
	s_cbranch_execz .LBB109_5
	s_branch .LBB109_8
.LBB109_4:
.LBB109_5:
	s_add_co_i32 s0, s2, 0x12c
	ds_store_b16 v7, v8 offset:200
	v_mov_b32_e32 v3, s0
	s_mov_b32 s0, exec_lo
	global_load_u16 v3, v3, s[4:5] scale_offset
	s_wait_loadcnt_dscnt 0x0
	s_barrier_signal -1
	s_barrier_wait -1
	v_cmpx_ne_u32_e32 0x63, v0
; %bb.6:
	ds_load_u16 v3, v7 offset:202
; %bb.7:
	s_or_b32 exec_lo, exec_lo, s0
	s_wait_dscnt 0x0
	v_sub_nc_u16 v0, v5, v3
	v_and_b32_e32 v3, 0xffff, v6
	s_delay_alu instid0(VALU_DEP_2)
	v_and_b32_e32 v4, 0xffff, v0
.LBB109_8:
	v_lshlrev_b32_e32 v0, 2, v1
	s_lshl_b64 s[0:1], s[2:3], 2
	s_delay_alu instid0(SALU_CYCLE_1)
	s_add_nc_u64 s[0:1], s[6:7], s[0:1]
	global_store_b96 v0, v[2:4], s[0:1]
	s_endpgm
	.section	.rodata,"a",@progbits
	.p2align	6, 0x0
	.amdhsa_kernel _Z21subtract_right_kernelItii10custom_op1Lj100ELj3EEvPKT_PT1_
		.amdhsa_group_segment_fixed_size 400
		.amdhsa_private_segment_fixed_size 0
		.amdhsa_kernarg_size 16
		.amdhsa_user_sgpr_count 2
		.amdhsa_user_sgpr_dispatch_ptr 0
		.amdhsa_user_sgpr_queue_ptr 0
		.amdhsa_user_sgpr_kernarg_segment_ptr 1
		.amdhsa_user_sgpr_dispatch_id 0
		.amdhsa_user_sgpr_kernarg_preload_length 0
		.amdhsa_user_sgpr_kernarg_preload_offset 0
		.amdhsa_user_sgpr_private_segment_size 0
		.amdhsa_wavefront_size32 1
		.amdhsa_uses_dynamic_stack 0
		.amdhsa_enable_private_segment 0
		.amdhsa_system_sgpr_workgroup_id_x 1
		.amdhsa_system_sgpr_workgroup_id_y 0
		.amdhsa_system_sgpr_workgroup_id_z 0
		.amdhsa_system_sgpr_workgroup_info 0
		.amdhsa_system_vgpr_workitem_id 0
		.amdhsa_next_free_vgpr 9
		.amdhsa_next_free_sgpr 9
		.amdhsa_named_barrier_count 0
		.amdhsa_reserve_vcc 1
		.amdhsa_float_round_mode_32 0
		.amdhsa_float_round_mode_16_64 0
		.amdhsa_float_denorm_mode_32 3
		.amdhsa_float_denorm_mode_16_64 3
		.amdhsa_fp16_overflow 0
		.amdhsa_memory_ordered 1
		.amdhsa_forward_progress 1
		.amdhsa_inst_pref_size 4
		.amdhsa_round_robin_scheduling 0
		.amdhsa_exception_fp_ieee_invalid_op 0
		.amdhsa_exception_fp_denorm_src 0
		.amdhsa_exception_fp_ieee_div_zero 0
		.amdhsa_exception_fp_ieee_overflow 0
		.amdhsa_exception_fp_ieee_underflow 0
		.amdhsa_exception_fp_ieee_inexact 0
		.amdhsa_exception_int_div_zero 0
	.end_amdhsa_kernel
	.section	.text._Z21subtract_right_kernelItii10custom_op1Lj100ELj3EEvPKT_PT1_,"axG",@progbits,_Z21subtract_right_kernelItii10custom_op1Lj100ELj3EEvPKT_PT1_,comdat
.Lfunc_end109:
	.size	_Z21subtract_right_kernelItii10custom_op1Lj100ELj3EEvPKT_PT1_, .Lfunc_end109-_Z21subtract_right_kernelItii10custom_op1Lj100ELj3EEvPKT_PT1_
                                        ; -- End function
	.set _Z21subtract_right_kernelItii10custom_op1Lj100ELj3EEvPKT_PT1_.num_vgpr, 9
	.set _Z21subtract_right_kernelItii10custom_op1Lj100ELj3EEvPKT_PT1_.num_agpr, 0
	.set _Z21subtract_right_kernelItii10custom_op1Lj100ELj3EEvPKT_PT1_.numbered_sgpr, 9
	.set _Z21subtract_right_kernelItii10custom_op1Lj100ELj3EEvPKT_PT1_.num_named_barrier, 0
	.set _Z21subtract_right_kernelItii10custom_op1Lj100ELj3EEvPKT_PT1_.private_seg_size, 0
	.set _Z21subtract_right_kernelItii10custom_op1Lj100ELj3EEvPKT_PT1_.uses_vcc, 1
	.set _Z21subtract_right_kernelItii10custom_op1Lj100ELj3EEvPKT_PT1_.uses_flat_scratch, 0
	.set _Z21subtract_right_kernelItii10custom_op1Lj100ELj3EEvPKT_PT1_.has_dyn_sized_stack, 0
	.set _Z21subtract_right_kernelItii10custom_op1Lj100ELj3EEvPKT_PT1_.has_recursion, 0
	.set _Z21subtract_right_kernelItii10custom_op1Lj100ELj3EEvPKT_PT1_.has_indirect_call, 0
	.section	.AMDGPU.csdata,"",@progbits
; Kernel info:
; codeLenInByte = 416
; TotalNumSgprs: 11
; NumVgprs: 9
; ScratchSize: 0
; MemoryBound: 0
; FloatMode: 240
; IeeeMode: 1
; LDSByteSize: 400 bytes/workgroup (compile time only)
; SGPRBlocks: 0
; VGPRBlocks: 0
; NumSGPRsForWavesPerEU: 11
; NumVGPRsForWavesPerEU: 9
; NamedBarCnt: 0
; Occupancy: 16
; WaveLimiterHint : 0
; COMPUTE_PGM_RSRC2:SCRATCH_EN: 0
; COMPUTE_PGM_RSRC2:USER_SGPR: 2
; COMPUTE_PGM_RSRC2:TRAP_HANDLER: 0
; COMPUTE_PGM_RSRC2:TGID_X_EN: 1
; COMPUTE_PGM_RSRC2:TGID_Y_EN: 0
; COMPUTE_PGM_RSRC2:TGID_Z_EN: 0
; COMPUTE_PGM_RSRC2:TIDIG_COMP_CNT: 0
	.section	.text._Z21subtract_right_kernelIdjjN6hipcub3SumELj464ELj2EEvPKT_PT1_,"axG",@progbits,_Z21subtract_right_kernelIdjjN6hipcub3SumELj464ELj2EEvPKT_PT1_,comdat
	.protected	_Z21subtract_right_kernelIdjjN6hipcub3SumELj464ELj2EEvPKT_PT1_ ; -- Begin function _Z21subtract_right_kernelIdjjN6hipcub3SumELj464ELj2EEvPKT_PT1_
	.globl	_Z21subtract_right_kernelIdjjN6hipcub3SumELj464ELj2EEvPKT_PT1_
	.p2align	8
	.type	_Z21subtract_right_kernelIdjjN6hipcub3SumELj464ELj2EEvPKT_PT1_,@function
_Z21subtract_right_kernelIdjjN6hipcub3SumELj464ELj2EEvPKT_PT1_: ; @_Z21subtract_right_kernelIdjjN6hipcub3SumELj464ELj2EEvPKT_PT1_
; %bb.0:
	s_load_b128 s[4:7], s[0:1], 0x0
	s_wait_xcnt 0x0
	s_bfe_u32 s0, ttmp6, 0x4000c
	s_and_b32 s1, ttmp6, 15
	s_add_co_i32 s0, s0, 1
	s_getreg_b32 s2, hwreg(HW_REG_IB_STS2, 6, 4)
	s_mul_i32 s0, ttmp9, s0
	s_mov_b32 s3, 0
	s_add_co_i32 s1, s1, s0
	s_cmp_eq_u32 s2, 0
	v_lshlrev_b32_e32 v8, 3, v0
	s_cselect_b32 s8, ttmp9, s1
	s_delay_alu instid0(SALU_CYCLE_1) | instskip(NEXT) | instid1(SALU_CYCLE_1)
	s_mul_i32 s2, s8, 0x3a0
	s_lshl_b64 s[0:1], s[2:3], 3
	s_bitcmp1_b32 s8, 0
	s_wait_kmcnt 0x0
	s_add_nc_u64 s[0:1], s[4:5], s[0:1]
	global_load_b128 v[2:5], v0, s[0:1] scale_offset
	s_wait_xcnt 0x0
	s_cselect_b32 s0, -1, 0
	s_delay_alu instid0(SALU_CYCLE_1) | instskip(SKIP_3) | instid1(VALU_DEP_1)
	s_and_b32 vcc_lo, exec_lo, s0
	v_cmp_ne_u32_e64 s0, 0x1cf, v0
	s_wait_loadcnt 0x0
	v_add_f64_e32 v[6:7], v[2:3], v[4:5]
	v_cvt_u32_f64_e32 v6, v[6:7]
	s_cbranch_vccz .LBB110_4
; %bb.1:
	v_cvt_u32_f64_e32 v7, v[4:5]
	ds_store_b64 v8, v[2:3] offset:3712
	s_wait_dscnt 0x0
	s_barrier_signal -1
	s_barrier_wait -1
	s_and_saveexec_b32 s1, s0
	s_cbranch_execz .LBB110_3
; %bb.2:
	ds_load_b64 v[10:11], v8 offset:3720
	s_wait_dscnt 0x0
	v_add_f64_e32 v[10:11], v[4:5], v[10:11]
	s_delay_alu instid0(VALU_DEP_1)
	v_cvt_u32_f64_e32 v7, v[10:11]
.LBB110_3:
	s_or_b32 exec_lo, exec_lo, s1
	v_lshlrev_b32_e32 v9, 1, v0
	s_cbranch_execz .LBB110_5
	s_branch .LBB110_8
.LBB110_4:
	v_lshlrev_b32_e32 v9, 1, v0
.LBB110_5:
	s_add_co_i32 s0, s2, 0x3a0
	v_cmp_ne_u32_e32 vcc_lo, 0x1cf, v0
	s_load_b64 s[0:1], s[4:5], s0 offset:0x0 scale_offset
	ds_store_b64 v8, v[2:3] offset:3712
	s_wait_dscnt 0x0
	s_barrier_signal -1
	s_barrier_wait -1
	s_wait_kmcnt 0x0
	v_mov_b64_e32 v[0:1], s[0:1]
	s_and_saveexec_b32 s0, vcc_lo
; %bb.6:
	ds_load_b64 v[0:1], v8 offset:3720
; %bb.7:
	s_or_b32 exec_lo, exec_lo, s0
	s_wait_dscnt 0x0
	v_add_f64_e32 v[0:1], v[4:5], v[0:1]
	s_delay_alu instid0(VALU_DEP_1)
	v_cvt_u32_f64_e32 v7, v[0:1]
.LBB110_8:
	s_delay_alu instid0(VALU_DEP_1) | instskip(SKIP_1) | instid1(SALU_CYCLE_1)
	v_lshlrev_b32_e32 v0, 2, v9
	s_lshl_b64 s[0:1], s[2:3], 2
	s_add_nc_u64 s[0:1], s[6:7], s[0:1]
	global_store_b64 v0, v[6:7], s[0:1]
	s_endpgm
	.section	.rodata,"a",@progbits
	.p2align	6, 0x0
	.amdhsa_kernel _Z21subtract_right_kernelIdjjN6hipcub3SumELj464ELj2EEvPKT_PT1_
		.amdhsa_group_segment_fixed_size 7424
		.amdhsa_private_segment_fixed_size 0
		.amdhsa_kernarg_size 16
		.amdhsa_user_sgpr_count 2
		.amdhsa_user_sgpr_dispatch_ptr 0
		.amdhsa_user_sgpr_queue_ptr 0
		.amdhsa_user_sgpr_kernarg_segment_ptr 1
		.amdhsa_user_sgpr_dispatch_id 0
		.amdhsa_user_sgpr_kernarg_preload_length 0
		.amdhsa_user_sgpr_kernarg_preload_offset 0
		.amdhsa_user_sgpr_private_segment_size 0
		.amdhsa_wavefront_size32 1
		.amdhsa_uses_dynamic_stack 0
		.amdhsa_enable_private_segment 0
		.amdhsa_system_sgpr_workgroup_id_x 1
		.amdhsa_system_sgpr_workgroup_id_y 0
		.amdhsa_system_sgpr_workgroup_id_z 0
		.amdhsa_system_sgpr_workgroup_info 0
		.amdhsa_system_vgpr_workitem_id 0
		.amdhsa_next_free_vgpr 12
		.amdhsa_next_free_sgpr 9
		.amdhsa_named_barrier_count 0
		.amdhsa_reserve_vcc 1
		.amdhsa_float_round_mode_32 0
		.amdhsa_float_round_mode_16_64 0
		.amdhsa_float_denorm_mode_32 3
		.amdhsa_float_denorm_mode_16_64 3
		.amdhsa_fp16_overflow 0
		.amdhsa_memory_ordered 1
		.amdhsa_forward_progress 1
		.amdhsa_inst_pref_size 3
		.amdhsa_round_robin_scheduling 0
		.amdhsa_exception_fp_ieee_invalid_op 0
		.amdhsa_exception_fp_denorm_src 0
		.amdhsa_exception_fp_ieee_div_zero 0
		.amdhsa_exception_fp_ieee_overflow 0
		.amdhsa_exception_fp_ieee_underflow 0
		.amdhsa_exception_fp_ieee_inexact 0
		.amdhsa_exception_int_div_zero 0
	.end_amdhsa_kernel
	.section	.text._Z21subtract_right_kernelIdjjN6hipcub3SumELj464ELj2EEvPKT_PT1_,"axG",@progbits,_Z21subtract_right_kernelIdjjN6hipcub3SumELj464ELj2EEvPKT_PT1_,comdat
.Lfunc_end110:
	.size	_Z21subtract_right_kernelIdjjN6hipcub3SumELj464ELj2EEvPKT_PT1_, .Lfunc_end110-_Z21subtract_right_kernelIdjjN6hipcub3SumELj464ELj2EEvPKT_PT1_
                                        ; -- End function
	.set _Z21subtract_right_kernelIdjjN6hipcub3SumELj464ELj2EEvPKT_PT1_.num_vgpr, 12
	.set _Z21subtract_right_kernelIdjjN6hipcub3SumELj464ELj2EEvPKT_PT1_.num_agpr, 0
	.set _Z21subtract_right_kernelIdjjN6hipcub3SumELj464ELj2EEvPKT_PT1_.numbered_sgpr, 9
	.set _Z21subtract_right_kernelIdjjN6hipcub3SumELj464ELj2EEvPKT_PT1_.num_named_barrier, 0
	.set _Z21subtract_right_kernelIdjjN6hipcub3SumELj464ELj2EEvPKT_PT1_.private_seg_size, 0
	.set _Z21subtract_right_kernelIdjjN6hipcub3SumELj464ELj2EEvPKT_PT1_.uses_vcc, 1
	.set _Z21subtract_right_kernelIdjjN6hipcub3SumELj464ELj2EEvPKT_PT1_.uses_flat_scratch, 0
	.set _Z21subtract_right_kernelIdjjN6hipcub3SumELj464ELj2EEvPKT_PT1_.has_dyn_sized_stack, 0
	.set _Z21subtract_right_kernelIdjjN6hipcub3SumELj464ELj2EEvPKT_PT1_.has_recursion, 0
	.set _Z21subtract_right_kernelIdjjN6hipcub3SumELj464ELj2EEvPKT_PT1_.has_indirect_call, 0
	.section	.AMDGPU.csdata,"",@progbits
; Kernel info:
; codeLenInByte = 332
; TotalNumSgprs: 11
; NumVgprs: 12
; ScratchSize: 0
; MemoryBound: 0
; FloatMode: 240
; IeeeMode: 1
; LDSByteSize: 7424 bytes/workgroup (compile time only)
; SGPRBlocks: 0
; VGPRBlocks: 0
; NumSGPRsForWavesPerEU: 11
; NumVGPRsForWavesPerEU: 12
; NamedBarCnt: 0
; Occupancy: 15
; WaveLimiterHint : 0
; COMPUTE_PGM_RSRC2:SCRATCH_EN: 0
; COMPUTE_PGM_RSRC2:USER_SGPR: 2
; COMPUTE_PGM_RSRC2:TRAP_HANDLER: 0
; COMPUTE_PGM_RSRC2:TGID_X_EN: 1
; COMPUTE_PGM_RSRC2:TGID_Y_EN: 0
; COMPUTE_PGM_RSRC2:TGID_Z_EN: 0
; COMPUTE_PGM_RSRC2:TIDIG_COMP_CNT: 0
	.section	.text._Z21subtract_right_kernelIdii10custom_op2Lj33ELj5EEvPKT_PT1_,"axG",@progbits,_Z21subtract_right_kernelIdii10custom_op2Lj33ELj5EEvPKT_PT1_,comdat
	.protected	_Z21subtract_right_kernelIdii10custom_op2Lj33ELj5EEvPKT_PT1_ ; -- Begin function _Z21subtract_right_kernelIdii10custom_op2Lj33ELj5EEvPKT_PT1_
	.globl	_Z21subtract_right_kernelIdii10custom_op2Lj33ELj5EEvPKT_PT1_
	.p2align	8
	.type	_Z21subtract_right_kernelIdii10custom_op2Lj33ELj5EEvPKT_PT1_,@function
_Z21subtract_right_kernelIdii10custom_op2Lj33ELj5EEvPKT_PT1_: ; @_Z21subtract_right_kernelIdii10custom_op2Lj33ELj5EEvPKT_PT1_
; %bb.0:
	s_load_b128 s[4:7], s[0:1], 0x0
	s_wait_xcnt 0x0
	s_bfe_u32 s0, ttmp6, 0x4000c
	s_and_b32 s1, ttmp6, 15
	s_add_co_i32 s0, s0, 1
	s_getreg_b32 s2, hwreg(HW_REG_IB_STS2, 6, 4)
	s_mul_i32 s0, ttmp9, s0
	v_mul_u32_u24_e32 v7, 5, v0
	s_add_co_i32 s1, s1, s0
	s_cmp_eq_u32 s2, 0
	s_mov_b32 s3, 0
	s_cselect_b32 s8, ttmp9, s1
	v_dual_lshlrev_b32 v1, 3, v7 :: v_dual_lshlrev_b32 v20, 3, v0
	s_mul_i32 s2, s8, 0xa5
	s_delay_alu instid0(SALU_CYCLE_1)
	s_lshl_b64 s[0:1], s[2:3], 3
	s_bitcmp1_b32 s8, 0
	s_wait_kmcnt 0x0
	s_add_nc_u64 s[0:1], s[4:5], s[0:1]
	s_clause 0x2
	global_load_b128 v[8:11], v1, s[0:1] offset:24
	global_load_b128 v[16:19], v1, s[0:1]
	global_load_b128 v[12:15], v1, s[0:1] offset:8
	s_wait_xcnt 0x0
	s_cselect_b32 s0, -1, 0
	s_delay_alu instid0(SALU_CYCLE_1)
	s_and_b32 vcc_lo, exec_lo, s0
	v_cmp_ne_u32_e64 s0, 32, v0
	s_cbranch_vccz .LBB111_4
; %bb.1:
	s_wait_loadcnt 0x0
	v_fma_f64 v[2:3], v[12:13], 2.0, -v[16:17]
	v_fma_f64 v[4:5], v[14:15], 2.0, -v[12:13]
	v_fma_f64 v[22:23], v[8:9], 2.0, -v[14:15]
	v_fma_f64 v[24:25], v[10:11], 2.0, -v[8:9]
	v_cvt_i32_f64_e32 v1, v[10:11]
	ds_store_b64 v20, v[16:17] offset:264
	s_wait_dscnt 0x0
	s_barrier_signal -1
	s_barrier_wait -1
	v_cvt_i32_f64_e32 v2, v[2:3]
	v_cvt_i32_f64_e32 v3, v[4:5]
	;; [unrolled: 1-line block ×4, first 2 shown]
	s_and_saveexec_b32 s1, s0
	s_cbranch_execz .LBB111_3
; %bb.2:
	ds_load_b64 v[22:23], v20 offset:272
	s_wait_dscnt 0x0
	v_fma_f64 v[22:23], v[22:23], 2.0, -v[10:11]
	s_delay_alu instid0(VALU_DEP_1)
	v_cvt_i32_f64_e32 v1, v[22:23]
.LBB111_3:
	s_or_b32 exec_lo, exec_lo, s1
	s_cbranch_execz .LBB111_5
	s_branch .LBB111_8
.LBB111_4:
                                        ; implicit-def: $vgpr1
                                        ; implicit-def: $vgpr2_vgpr3_vgpr4_vgpr5_vgpr6
.LBB111_5:
	s_add_co_i32 s0, s2, 0xa5
	v_cmp_ne_u32_e32 vcc_lo, 32, v0
	s_load_b64 s[0:1], s[4:5], s0 offset:0x0 scale_offset
	s_wait_loadcnt 0x1
	ds_store_b64 v20, v[16:17] offset:264
	s_wait_loadcnt_dscnt 0x0
	s_barrier_signal -1
	s_barrier_wait -1
	s_wait_kmcnt 0x0
	v_mov_b64_e32 v[0:1], s[0:1]
	s_and_saveexec_b32 s0, vcc_lo
; %bb.6:
	ds_load_b64 v[0:1], v20 offset:272
; %bb.7:
	s_or_b32 exec_lo, exec_lo, s0
	v_fma_f64 v[2:3], v[14:15], 2.0, -v[18:19]
	v_fma_f64 v[4:5], v[12:13], 2.0, -v[16:17]
	;; [unrolled: 1-line block ×4, first 2 shown]
	s_wait_dscnt 0x0
	v_fma_f64 v[0:1], v[0:1], 2.0, -v[10:11]
	v_cvt_i32_f64_e32 v3, v[2:3]
	v_cvt_i32_f64_e32 v2, v[4:5]
	v_cvt_i32_f64_e32 v5, v[12:13]
	v_cvt_i32_f64_e32 v4, v[8:9]
	v_cvt_i32_f64_e32 v1, v[0:1]
.LBB111_8:
	v_lshlrev_b32_e32 v0, 2, v7
	s_lshl_b64 s[0:1], s[2:3], 2
	s_delay_alu instid0(SALU_CYCLE_1)
	s_add_nc_u64 s[0:1], s[6:7], s[0:1]
	s_clause 0x1
	global_store_b128 v0, v[2:5], s[0:1]
	global_store_b32 v7, v1, s[0:1] offset:16 scale_offset
	s_endpgm
	.section	.rodata,"a",@progbits
	.p2align	6, 0x0
	.amdhsa_kernel _Z21subtract_right_kernelIdii10custom_op2Lj33ELj5EEvPKT_PT1_
		.amdhsa_group_segment_fixed_size 528
		.amdhsa_private_segment_fixed_size 0
		.amdhsa_kernarg_size 16
		.amdhsa_user_sgpr_count 2
		.amdhsa_user_sgpr_dispatch_ptr 0
		.amdhsa_user_sgpr_queue_ptr 0
		.amdhsa_user_sgpr_kernarg_segment_ptr 1
		.amdhsa_user_sgpr_dispatch_id 0
		.amdhsa_user_sgpr_kernarg_preload_length 0
		.amdhsa_user_sgpr_kernarg_preload_offset 0
		.amdhsa_user_sgpr_private_segment_size 0
		.amdhsa_wavefront_size32 1
		.amdhsa_uses_dynamic_stack 0
		.amdhsa_enable_private_segment 0
		.amdhsa_system_sgpr_workgroup_id_x 1
		.amdhsa_system_sgpr_workgroup_id_y 0
		.amdhsa_system_sgpr_workgroup_id_z 0
		.amdhsa_system_sgpr_workgroup_info 0
		.amdhsa_system_vgpr_workitem_id 0
		.amdhsa_next_free_vgpr 26
		.amdhsa_next_free_sgpr 9
		.amdhsa_named_barrier_count 0
		.amdhsa_reserve_vcc 1
		.amdhsa_float_round_mode_32 0
		.amdhsa_float_round_mode_16_64 0
		.amdhsa_float_denorm_mode_32 3
		.amdhsa_float_denorm_mode_16_64 3
		.amdhsa_fp16_overflow 0
		.amdhsa_memory_ordered 1
		.amdhsa_forward_progress 1
		.amdhsa_inst_pref_size 4
		.amdhsa_round_robin_scheduling 0
		.amdhsa_exception_fp_ieee_invalid_op 0
		.amdhsa_exception_fp_denorm_src 0
		.amdhsa_exception_fp_ieee_div_zero 0
		.amdhsa_exception_fp_ieee_overflow 0
		.amdhsa_exception_fp_ieee_underflow 0
		.amdhsa_exception_fp_ieee_inexact 0
		.amdhsa_exception_int_div_zero 0
	.end_amdhsa_kernel
	.section	.text._Z21subtract_right_kernelIdii10custom_op2Lj33ELj5EEvPKT_PT1_,"axG",@progbits,_Z21subtract_right_kernelIdii10custom_op2Lj33ELj5EEvPKT_PT1_,comdat
.Lfunc_end111:
	.size	_Z21subtract_right_kernelIdii10custom_op2Lj33ELj5EEvPKT_PT1_, .Lfunc_end111-_Z21subtract_right_kernelIdii10custom_op2Lj33ELj5EEvPKT_PT1_
                                        ; -- End function
	.set _Z21subtract_right_kernelIdii10custom_op2Lj33ELj5EEvPKT_PT1_.num_vgpr, 26
	.set _Z21subtract_right_kernelIdii10custom_op2Lj33ELj5EEvPKT_PT1_.num_agpr, 0
	.set _Z21subtract_right_kernelIdii10custom_op2Lj33ELj5EEvPKT_PT1_.numbered_sgpr, 9
	.set _Z21subtract_right_kernelIdii10custom_op2Lj33ELj5EEvPKT_PT1_.num_named_barrier, 0
	.set _Z21subtract_right_kernelIdii10custom_op2Lj33ELj5EEvPKT_PT1_.private_seg_size, 0
	.set _Z21subtract_right_kernelIdii10custom_op2Lj33ELj5EEvPKT_PT1_.uses_vcc, 1
	.set _Z21subtract_right_kernelIdii10custom_op2Lj33ELj5EEvPKT_PT1_.uses_flat_scratch, 0
	.set _Z21subtract_right_kernelIdii10custom_op2Lj33ELj5EEvPKT_PT1_.has_dyn_sized_stack, 0
	.set _Z21subtract_right_kernelIdii10custom_op2Lj33ELj5EEvPKT_PT1_.has_recursion, 0
	.set _Z21subtract_right_kernelIdii10custom_op2Lj33ELj5EEvPKT_PT1_.has_indirect_call, 0
	.section	.AMDGPU.csdata,"",@progbits
; Kernel info:
; codeLenInByte = 468
; TotalNumSgprs: 11
; NumVgprs: 26
; ScratchSize: 0
; MemoryBound: 0
; FloatMode: 240
; IeeeMode: 1
; LDSByteSize: 528 bytes/workgroup (compile time only)
; SGPRBlocks: 0
; VGPRBlocks: 1
; NumSGPRsForWavesPerEU: 11
; NumVGPRsForWavesPerEU: 26
; NamedBarCnt: 0
; Occupancy: 16
; WaveLimiterHint : 0
; COMPUTE_PGM_RSRC2:SCRATCH_EN: 0
; COMPUTE_PGM_RSRC2:USER_SGPR: 2
; COMPUTE_PGM_RSRC2:TRAP_HANDLER: 0
; COMPUTE_PGM_RSRC2:TGID_X_EN: 1
; COMPUTE_PGM_RSRC2:TGID_Y_EN: 0
; COMPUTE_PGM_RSRC2:TGID_Z_EN: 0
; COMPUTE_PGM_RSRC2:TIDIG_COMP_CNT: 0
	.section	.text._Z21subtract_right_kernelIsss10custom_op1Lj512ELj8EEvPKT_PT1_,"axG",@progbits,_Z21subtract_right_kernelIsss10custom_op1Lj512ELj8EEvPKT_PT1_,comdat
	.protected	_Z21subtract_right_kernelIsss10custom_op1Lj512ELj8EEvPKT_PT1_ ; -- Begin function _Z21subtract_right_kernelIsss10custom_op1Lj512ELj8EEvPKT_PT1_
	.globl	_Z21subtract_right_kernelIsss10custom_op1Lj512ELj8EEvPKT_PT1_
	.p2align	8
	.type	_Z21subtract_right_kernelIsss10custom_op1Lj512ELj8EEvPKT_PT1_,@function
_Z21subtract_right_kernelIsss10custom_op1Lj512ELj8EEvPKT_PT1_: ; @_Z21subtract_right_kernelIsss10custom_op1Lj512ELj8EEvPKT_PT1_
; %bb.0:
	s_load_b128 s[0:3], s[0:1], 0x0
	s_bfe_u32 s4, ttmp6, 0x4000c
	s_and_b32 s5, ttmp6, 15
	s_add_co_i32 s4, s4, 1
	s_getreg_b32 s6, hwreg(HW_REG_IB_STS2, 6, 4)
	s_mul_i32 s4, ttmp9, s4
	v_dual_lshlrev_b32 v2, 4, v0 :: v_dual_lshlrev_b32 v13, 1, v0
	s_add_co_i32 s5, s5, s4
	s_cmp_eq_u32 s6, 0
	s_cselect_b32 s8, ttmp9, s5
	s_mov_b32 s5, 0
	s_lshl_b32 s4, s8, 12
	s_delay_alu instid0(SALU_CYCLE_1)
	s_lshl_b64 s[4:5], s[4:5], 1
	s_bitcmp1_b32 s8, 0
	s_wait_kmcnt 0x0
	s_add_nc_u64 s[6:7], s[0:1], s[4:5]
	s_cselect_b32 s0, -1, 0
	s_clause 0x3
	global_load_u16 v8, v2, s[6:7] offset:14
	global_load_b64 v[6:7], v2, s[6:7] offset:2
	global_load_b32 v1, v2, s[6:7] offset:10
	global_load_b32 v9, v2, s[6:7]
	s_and_b32 vcc_lo, exec_lo, s0
	v_cmp_ne_u32_e64 s0, 0x1ff, v0
	s_wait_loadcnt 0x2
	v_alignbit_b32 v10, v7, v6, 16
	s_wait_loadcnt 0x1
	v_lshrrev_b32_e32 v12, 16, v1
	v_alignbit_b32 v11, v1, v7, 16
	s_cbranch_vccz .LBB112_5
; %bb.1:
	s_wait_loadcnt 0x0
	v_perm_b32 v2, v6, v9, 0x7060302
	v_sub_nc_u16 v5, v12, v8
	v_pk_sub_i16 v3, v10, v7
	v_pk_sub_i16 v4, v11, v1
	ds_store_b16 v13, v9 offset:1024
	v_pk_sub_i16 v2, v9, v2
	v_perm_b32 v5, v8, v5, 0x5040100
	s_wait_dscnt 0x0
	s_barrier_signal -1
	s_barrier_wait -1
	s_and_saveexec_b32 s1, s0
	s_cbranch_execz .LBB112_3
; %bb.2:
	ds_load_u16 v14, v13 offset:1026
	s_wait_dscnt 0x0
	v_sub_nc_u16 v14, v8, v14
	s_delay_alu instid0(VALU_DEP_1)
	v_perm_b32 v5, v14, v5, 0x5040100
.LBB112_3:
	s_or_b32 exec_lo, exec_lo, s1
	v_lshlrev_b32_e32 v14, 3, v0
	s_cbranch_execz .LBB112_6
; %bb.4:
	s_delay_alu instid0(VALU_DEP_1)
	v_lshlrev_b32_e32 v0, 1, v14
	s_add_nc_u64 s[0:1], s[2:3], s[4:5]
	global_store_b128 v0, v[2:5], s[0:1]
	s_endpgm
.LBB112_5:
                                        ; implicit-def: $vgpr5
	v_lshlrev_b32_e32 v14, 3, v0
.LBB112_6:
	s_wait_xcnt 0x0
	v_mov_b32_e32 v2, 0
	s_mov_b32 s0, exec_lo
	s_wait_loadcnt 0x0
	ds_store_b16 v13, v9 offset:1024
	global_load_u16 v2, v2, s[6:7] offset:8192
	s_wait_loadcnt_dscnt 0x0
	s_barrier_signal -1
	s_barrier_wait -1
	v_cmpx_ne_u32_e32 0x1ff, v0
; %bb.7:
	ds_load_u16 v2, v13 offset:1026
; %bb.8:
	s_or_b32 exec_lo, exec_lo, s0
	v_sub_nc_u16 v0, v12, v8
	s_wait_dscnt 0x0
	v_sub_nc_u16 v5, v8, v2
	v_pk_sub_i16 v2, v9, v6
	v_pk_sub_i16 v3, v10, v7
	;; [unrolled: 1-line block ×3, first 2 shown]
	s_delay_alu instid0(VALU_DEP_4)
	v_perm_b32 v5, v5, v0, 0x5040100
	v_lshlrev_b32_e32 v0, 1, v14
	s_add_nc_u64 s[0:1], s[2:3], s[4:5]
	global_store_b128 v0, v[2:5], s[0:1]
	s_endpgm
	.section	.rodata,"a",@progbits
	.p2align	6, 0x0
	.amdhsa_kernel _Z21subtract_right_kernelIsss10custom_op1Lj512ELj8EEvPKT_PT1_
		.amdhsa_group_segment_fixed_size 2048
		.amdhsa_private_segment_fixed_size 0
		.amdhsa_kernarg_size 16
		.amdhsa_user_sgpr_count 2
		.amdhsa_user_sgpr_dispatch_ptr 0
		.amdhsa_user_sgpr_queue_ptr 0
		.amdhsa_user_sgpr_kernarg_segment_ptr 1
		.amdhsa_user_sgpr_dispatch_id 0
		.amdhsa_user_sgpr_kernarg_preload_length 0
		.amdhsa_user_sgpr_kernarg_preload_offset 0
		.amdhsa_user_sgpr_private_segment_size 0
		.amdhsa_wavefront_size32 1
		.amdhsa_uses_dynamic_stack 0
		.amdhsa_enable_private_segment 0
		.amdhsa_system_sgpr_workgroup_id_x 1
		.amdhsa_system_sgpr_workgroup_id_y 0
		.amdhsa_system_sgpr_workgroup_id_z 0
		.amdhsa_system_sgpr_workgroup_info 0
		.amdhsa_system_vgpr_workitem_id 0
		.amdhsa_next_free_vgpr 15
		.amdhsa_next_free_sgpr 9
		.amdhsa_named_barrier_count 0
		.amdhsa_reserve_vcc 1
		.amdhsa_float_round_mode_32 0
		.amdhsa_float_round_mode_16_64 0
		.amdhsa_float_denorm_mode_32 3
		.amdhsa_float_denorm_mode_16_64 3
		.amdhsa_fp16_overflow 0
		.amdhsa_memory_ordered 1
		.amdhsa_forward_progress 1
		.amdhsa_inst_pref_size 4
		.amdhsa_round_robin_scheduling 0
		.amdhsa_exception_fp_ieee_invalid_op 0
		.amdhsa_exception_fp_denorm_src 0
		.amdhsa_exception_fp_ieee_div_zero 0
		.amdhsa_exception_fp_ieee_overflow 0
		.amdhsa_exception_fp_ieee_underflow 0
		.amdhsa_exception_fp_ieee_inexact 0
		.amdhsa_exception_int_div_zero 0
	.end_amdhsa_kernel
	.section	.text._Z21subtract_right_kernelIsss10custom_op1Lj512ELj8EEvPKT_PT1_,"axG",@progbits,_Z21subtract_right_kernelIsss10custom_op1Lj512ELj8EEvPKT_PT1_,comdat
.Lfunc_end112:
	.size	_Z21subtract_right_kernelIsss10custom_op1Lj512ELj8EEvPKT_PT1_, .Lfunc_end112-_Z21subtract_right_kernelIsss10custom_op1Lj512ELj8EEvPKT_PT1_
                                        ; -- End function
	.set _Z21subtract_right_kernelIsss10custom_op1Lj512ELj8EEvPKT_PT1_.num_vgpr, 15
	.set _Z21subtract_right_kernelIsss10custom_op1Lj512ELj8EEvPKT_PT1_.num_agpr, 0
	.set _Z21subtract_right_kernelIsss10custom_op1Lj512ELj8EEvPKT_PT1_.numbered_sgpr, 9
	.set _Z21subtract_right_kernelIsss10custom_op1Lj512ELj8EEvPKT_PT1_.num_named_barrier, 0
	.set _Z21subtract_right_kernelIsss10custom_op1Lj512ELj8EEvPKT_PT1_.private_seg_size, 0
	.set _Z21subtract_right_kernelIsss10custom_op1Lj512ELj8EEvPKT_PT1_.uses_vcc, 1
	.set _Z21subtract_right_kernelIsss10custom_op1Lj512ELj8EEvPKT_PT1_.uses_flat_scratch, 0
	.set _Z21subtract_right_kernelIsss10custom_op1Lj512ELj8EEvPKT_PT1_.has_dyn_sized_stack, 0
	.set _Z21subtract_right_kernelIsss10custom_op1Lj512ELj8EEvPKT_PT1_.has_recursion, 0
	.set _Z21subtract_right_kernelIsss10custom_op1Lj512ELj8EEvPKT_PT1_.has_indirect_call, 0
	.section	.AMDGPU.csdata,"",@progbits
; Kernel info:
; codeLenInByte = 508
; TotalNumSgprs: 11
; NumVgprs: 15
; ScratchSize: 0
; MemoryBound: 0
; FloatMode: 240
; IeeeMode: 1
; LDSByteSize: 2048 bytes/workgroup (compile time only)
; SGPRBlocks: 0
; VGPRBlocks: 0
; NumSGPRsForWavesPerEU: 11
; NumVGPRsForWavesPerEU: 15
; NamedBarCnt: 0
; Occupancy: 16
; WaveLimiterHint : 0
; COMPUTE_PGM_RSRC2:SCRATCH_EN: 0
; COMPUTE_PGM_RSRC2:USER_SGPR: 2
; COMPUTE_PGM_RSRC2:TRAP_HANDLER: 0
; COMPUTE_PGM_RSRC2:TGID_X_EN: 1
; COMPUTE_PGM_RSRC2:TGID_Y_EN: 0
; COMPUTE_PGM_RSRC2:TGID_Z_EN: 0
; COMPUTE_PGM_RSRC2:TIDIG_COMP_CNT: 0
	.section	.text._Z21subtract_right_kernelIthhN6hipcub3SumELj256ELj7EEvPKT_PT1_,"axG",@progbits,_Z21subtract_right_kernelIthhN6hipcub3SumELj256ELj7EEvPKT_PT1_,comdat
	.protected	_Z21subtract_right_kernelIthhN6hipcub3SumELj256ELj7EEvPKT_PT1_ ; -- Begin function _Z21subtract_right_kernelIthhN6hipcub3SumELj256ELj7EEvPKT_PT1_
	.globl	_Z21subtract_right_kernelIthhN6hipcub3SumELj256ELj7EEvPKT_PT1_
	.p2align	8
	.type	_Z21subtract_right_kernelIthhN6hipcub3SumELj256ELj7EEvPKT_PT1_,@function
_Z21subtract_right_kernelIthhN6hipcub3SumELj256ELj7EEvPKT_PT1_: ; @_Z21subtract_right_kernelIthhN6hipcub3SumELj256ELj7EEvPKT_PT1_
; %bb.0:
	s_load_b128 s[4:7], s[0:1], 0x0
	s_wait_xcnt 0x0
	s_bfe_u32 s0, ttmp6, 0x4000c
	s_and_b32 s1, ttmp6, 15
	s_add_co_i32 s0, s0, 1
	s_getreg_b32 s2, hwreg(HW_REG_IB_STS2, 6, 4)
	s_mul_i32 s0, ttmp9, s0
	v_mul_u32_u24_e32 v6, 7, v0
	s_add_co_i32 s1, s1, s0
	s_cmp_eq_u32 s2, 0
	s_mov_b32 s3, 0
	s_cselect_b32 s8, ttmp9, s1
	v_dual_lshlrev_b32 v1, 1, v6 :: v_dual_lshlrev_b32 v14, 1, v0
	s_mul_i32 s2, s8, 0x700
	s_delay_alu instid0(SALU_CYCLE_1)
	s_lshl_b64 s[0:1], s[2:3], 1
	s_bitcmp1_b32 s8, 0
	s_wait_kmcnt 0x0
	s_add_nc_u64 s[0:1], s[4:5], s[0:1]
	s_clause 0x1
	global_load_b96 v[2:4], v1, s[0:1] offset:2
	global_load_b64 v[8:9], v1, s[0:1]
	s_wait_xcnt 0x0
	s_cselect_b32 s0, -1, 0
	s_delay_alu instid0(SALU_CYCLE_1)
	s_and_b32 vcc_lo, exec_lo, s0
	v_cmp_ne_u32_e64 s0, 0xff, v0
	s_wait_loadcnt 0x1
	v_dual_lshrrev_b32 v12, 16, v3 :: v_dual_lshrrev_b32 v5, 16, v4
	v_lshrrev_b32_e32 v13, 16, v2
	s_wait_loadcnt 0x0
	v_add_nc_u16 v11, v2, v8
	s_delay_alu instid0(VALU_DEP_3)
	v_add_nc_u16 v1, v4, v12
	v_add_nc_u16 v10, v5, v4
	s_cbranch_vccz .LBB113_4
; %bb.1:
	v_add_nc_u16 v2, v13, v2
	v_add_nc_u16 v7, v12, v3
	;; [unrolled: 1-line block ×5, first 2 shown]
	v_lshlrev_b16 v2, 8, v2
	v_lshlrev_b16 v7, 8, v7
	ds_store_b16 v14, v8 offset:512
	s_wait_dscnt 0x0
	s_barrier_signal -1
	v_lshrrev_b32_e32 v2, 8, v2
	v_perm_b32 v7, v15, v7, 0xc0c0104
	s_barrier_wait -1
	s_delay_alu instid0(VALU_DEP_2) | instskip(NEXT) | instid1(VALU_DEP_1)
	v_lshlrev_b16 v2, 8, v2
	v_bitop3_b16 v2, v11, v2, 0xff bitop3:0xec
	s_delay_alu instid0(VALU_DEP_1) | instskip(NEXT) | instid1(VALU_DEP_1)
	v_and_b32_e32 v2, 0xffff, v2
	v_lshl_or_b32 v15, v7, 16, v2
	v_mov_b32_e32 v2, v5
	s_and_saveexec_b32 s1, s0
	s_cbranch_execz .LBB113_3
; %bb.2:
	ds_load_u8 v2, v14 offset:514
	v_perm_b32 v15, v15, v15, 0x3020104
	s_wait_dscnt 0x0
	v_add_nc_u16 v2, v2, v5
.LBB113_3:
	s_or_b32 exec_lo, exec_lo, s1
	v_mov_b32_e32 v7, 0
	s_cbranch_execz .LBB113_5
	s_branch .LBB113_8
.LBB113_4:
                                        ; implicit-def: $vgpr2
                                        ; implicit-def: $vgpr4
                                        ; implicit-def: $vgpr16
                                        ; implicit-def: $vgpr15
	v_mov_b32_e32 v7, 0
.LBB113_5:
	s_add_co_i32 s0, s2, 0x700
	ds_store_b16 v14, v8 offset:512
	v_mov_b32_e32 v2, s0
	s_mov_b32 s0, exec_lo
	global_load_u16 v2, v2, s[4:5] scale_offset
	s_wait_loadcnt_dscnt 0x0
	s_barrier_signal -1
	s_barrier_wait -1
	v_cmpx_ne_u32_e32 0xff, v0
; %bb.6:
	ds_load_u16 v2, v14 offset:514
; %bb.7:
	s_or_b32 exec_lo, exec_lo, s0
	v_dual_lshrrev_b32 v0, 16, v8 :: v_dual_lshrrev_b32 v4, 16, v9
	v_add_nc_u16 v3, v3, v9
	s_wait_dscnt 0x0
	v_add_nc_u16 v2, v2, v5
	v_mov_b32_e32 v16, v1
	v_add_nc_u16 v0, v13, v0
	v_add_nc_u16 v4, v12, v4
	s_delay_alu instid0(VALU_DEP_2) | instskip(NEXT) | instid1(VALU_DEP_2)
	v_lshlrev_b16 v0, 8, v0
	v_lshlrev_b16 v4, 8, v4
	s_delay_alu instid0(VALU_DEP_1) | instskip(NEXT) | instid1(VALU_DEP_1)
	v_bitop3_b16 v3, v3, v4, 0xff bitop3:0xec
	v_dual_lshrrev_b32 v0, 8, v0 :: v_dual_lshlrev_b32 v3, 16, v3
	s_delay_alu instid0(VALU_DEP_1) | instskip(NEXT) | instid1(VALU_DEP_1)
	v_lshlrev_b16 v0, 8, v0
	v_bitop3_b16 v0, v11, v0, 0xff bitop3:0xec
	s_delay_alu instid0(VALU_DEP_1) | instskip(NEXT) | instid1(VALU_DEP_1)
	v_and_b32_e32 v0, 0xffff, v0
	v_dual_mov_b32 v4, v10 :: v_dual_bitop2_b32 v15, v0, v3 bitop3:0x54
.LBB113_8:
	s_add_nc_u64 s[0:1], s[6:7], s[2:3]
	s_delay_alu instid0(VALU_DEP_1)
	v_perm_b32 v3, v16, v4, 0xc0c0004
	v_add_nc_u64_e32 v[0:1], s[0:1], v[6:7]
	s_clause 0x2
	global_store_b8 v[0:1], v2, off offset:6
	global_store_b16 v[0:1], v3, off offset:4
	global_store_b32 v[0:1], v15, off
	s_endpgm
	.section	.rodata,"a",@progbits
	.p2align	6, 0x0
	.amdhsa_kernel _Z21subtract_right_kernelIthhN6hipcub3SumELj256ELj7EEvPKT_PT1_
		.amdhsa_group_segment_fixed_size 1024
		.amdhsa_private_segment_fixed_size 0
		.amdhsa_kernarg_size 16
		.amdhsa_user_sgpr_count 2
		.amdhsa_user_sgpr_dispatch_ptr 0
		.amdhsa_user_sgpr_queue_ptr 0
		.amdhsa_user_sgpr_kernarg_segment_ptr 1
		.amdhsa_user_sgpr_dispatch_id 0
		.amdhsa_user_sgpr_kernarg_preload_length 0
		.amdhsa_user_sgpr_kernarg_preload_offset 0
		.amdhsa_user_sgpr_private_segment_size 0
		.amdhsa_wavefront_size32 1
		.amdhsa_uses_dynamic_stack 0
		.amdhsa_enable_private_segment 0
		.amdhsa_system_sgpr_workgroup_id_x 1
		.amdhsa_system_sgpr_workgroup_id_y 0
		.amdhsa_system_sgpr_workgroup_id_z 0
		.amdhsa_system_sgpr_workgroup_info 0
		.amdhsa_system_vgpr_workitem_id 0
		.amdhsa_next_free_vgpr 17
		.amdhsa_next_free_sgpr 9
		.amdhsa_named_barrier_count 0
		.amdhsa_reserve_vcc 1
		.amdhsa_float_round_mode_32 0
		.amdhsa_float_round_mode_16_64 0
		.amdhsa_float_denorm_mode_32 3
		.amdhsa_float_denorm_mode_16_64 3
		.amdhsa_fp16_overflow 0
		.amdhsa_memory_ordered 1
		.amdhsa_forward_progress 1
		.amdhsa_inst_pref_size 6
		.amdhsa_round_robin_scheduling 0
		.amdhsa_exception_fp_ieee_invalid_op 0
		.amdhsa_exception_fp_denorm_src 0
		.amdhsa_exception_fp_ieee_div_zero 0
		.amdhsa_exception_fp_ieee_overflow 0
		.amdhsa_exception_fp_ieee_underflow 0
		.amdhsa_exception_fp_ieee_inexact 0
		.amdhsa_exception_int_div_zero 0
	.end_amdhsa_kernel
	.section	.text._Z21subtract_right_kernelIthhN6hipcub3SumELj256ELj7EEvPKT_PT1_,"axG",@progbits,_Z21subtract_right_kernelIthhN6hipcub3SumELj256ELj7EEvPKT_PT1_,comdat
.Lfunc_end113:
	.size	_Z21subtract_right_kernelIthhN6hipcub3SumELj256ELj7EEvPKT_PT1_, .Lfunc_end113-_Z21subtract_right_kernelIthhN6hipcub3SumELj256ELj7EEvPKT_PT1_
                                        ; -- End function
	.set _Z21subtract_right_kernelIthhN6hipcub3SumELj256ELj7EEvPKT_PT1_.num_vgpr, 17
	.set _Z21subtract_right_kernelIthhN6hipcub3SumELj256ELj7EEvPKT_PT1_.num_agpr, 0
	.set _Z21subtract_right_kernelIthhN6hipcub3SumELj256ELj7EEvPKT_PT1_.numbered_sgpr, 9
	.set _Z21subtract_right_kernelIthhN6hipcub3SumELj256ELj7EEvPKT_PT1_.num_named_barrier, 0
	.set _Z21subtract_right_kernelIthhN6hipcub3SumELj256ELj7EEvPKT_PT1_.private_seg_size, 0
	.set _Z21subtract_right_kernelIthhN6hipcub3SumELj256ELj7EEvPKT_PT1_.uses_vcc, 1
	.set _Z21subtract_right_kernelIthhN6hipcub3SumELj256ELj7EEvPKT_PT1_.uses_flat_scratch, 0
	.set _Z21subtract_right_kernelIthhN6hipcub3SumELj256ELj7EEvPKT_PT1_.has_dyn_sized_stack, 0
	.set _Z21subtract_right_kernelIthhN6hipcub3SumELj256ELj7EEvPKT_PT1_.has_recursion, 0
	.set _Z21subtract_right_kernelIthhN6hipcub3SumELj256ELj7EEvPKT_PT1_.has_indirect_call, 0
	.section	.AMDGPU.csdata,"",@progbits
; Kernel info:
; codeLenInByte = 692
; TotalNumSgprs: 11
; NumVgprs: 17
; ScratchSize: 0
; MemoryBound: 0
; FloatMode: 240
; IeeeMode: 1
; LDSByteSize: 1024 bytes/workgroup (compile time only)
; SGPRBlocks: 0
; VGPRBlocks: 1
; NumSGPRsForWavesPerEU: 11
; NumVGPRsForWavesPerEU: 17
; NamedBarCnt: 0
; Occupancy: 16
; WaveLimiterHint : 0
; COMPUTE_PGM_RSRC2:SCRATCH_EN: 0
; COMPUTE_PGM_RSRC2:USER_SGPR: 2
; COMPUTE_PGM_RSRC2:TRAP_HANDLER: 0
; COMPUTE_PGM_RSRC2:TGID_X_EN: 1
; COMPUTE_PGM_RSRC2:TGID_Y_EN: 0
; COMPUTE_PGM_RSRC2:TGID_Z_EN: 0
; COMPUTE_PGM_RSRC2:TIDIG_COMP_CNT: 0
	.section	.text._Z21subtract_right_kernelIiss10custom_op2Lj128ELj4EEvPKT_PT1_,"axG",@progbits,_Z21subtract_right_kernelIiss10custom_op2Lj128ELj4EEvPKT_PT1_,comdat
	.protected	_Z21subtract_right_kernelIiss10custom_op2Lj128ELj4EEvPKT_PT1_ ; -- Begin function _Z21subtract_right_kernelIiss10custom_op2Lj128ELj4EEvPKT_PT1_
	.globl	_Z21subtract_right_kernelIiss10custom_op2Lj128ELj4EEvPKT_PT1_
	.p2align	8
	.type	_Z21subtract_right_kernelIiss10custom_op2Lj128ELj4EEvPKT_PT1_,@function
_Z21subtract_right_kernelIiss10custom_op2Lj128ELj4EEvPKT_PT1_: ; @_Z21subtract_right_kernelIiss10custom_op2Lj128ELj4EEvPKT_PT1_
; %bb.0:
	s_load_b128 s[0:3], s[0:1], 0x0
	s_bfe_u32 s4, ttmp6, 0x4000c
	s_and_b32 s5, ttmp6, 15
	s_add_co_i32 s4, s4, 1
	s_getreg_b32 s6, hwreg(HW_REG_IB_STS2, 6, 4)
	s_mul_i32 s4, ttmp9, s4
	v_lshlrev_b32_e32 v1, 4, v0
	s_add_co_i32 s5, s5, s4
	s_cmp_eq_u32 s6, 0
	s_cselect_b32 s8, ttmp9, s5
	s_mov_b32 s5, 0
	s_lshl_b32 s4, s8, 9
	s_delay_alu instid0(SALU_CYCLE_1)
	s_lshl_b64 s[6:7], s[4:5], 2
	s_bitcmp1_b32 s8, 0
	s_wait_kmcnt 0x0
	s_add_nc_u64 s[6:7], s[0:1], s[6:7]
	s_cselect_b32 s0, -1, 0
	s_clause 0x1
	global_load_b96 v[2:4], v1, s[6:7] offset:4
	global_load_b64 v[6:7], v1, s[6:7]
	s_wait_xcnt 0x0
	v_lshlrev_b32_e32 v1, 2, v0
	s_and_b32 vcc_lo, exec_lo, s0
	v_cmp_ne_u32_e64 s0, 0x7f, v0
	s_wait_loadcnt 0x1
	v_dual_lshlrev_b32 v5, 1, v2 :: v_dual_lshlrev_b32 v10, 1, v3
	v_lshlrev_b32_e32 v11, 1, v4
	s_cbranch_vccz .LBB114_4
; %bb.1:
	s_delay_alu instid0(VALU_DEP_1)
	v_dual_sub_nc_u32 v2, v10, v2 :: v_dual_sub_nc_u32 v9, v11, v3
	s_wait_loadcnt 0x0
	v_sub_nc_u32_e32 v8, v5, v6
	ds_store_b32 v1, v6 offset:512
	s_wait_dscnt 0x0
	s_barrier_signal -1
	v_perm_b32 v9, v4, v9, 0x5040100
	v_perm_b32 v8, v2, v8, 0x5040100
	s_barrier_wait -1
	s_and_saveexec_b32 s1, s0
	s_cbranch_execz .LBB114_3
; %bb.2:
	ds_load_b32 v2, v1 offset:516
	s_wait_dscnt 0x0
	v_lshlrev_b32_e32 v2, 1, v2
	s_delay_alu instid0(VALU_DEP_1) | instskip(NEXT) | instid1(VALU_DEP_1)
	v_sub_nc_u32_e32 v2, v2, v4
	v_perm_b32 v9, v2, v9, 0x5040100
.LBB114_3:
	s_or_b32 exec_lo, exec_lo, s1
	s_cbranch_execz .LBB114_5
	s_branch .LBB114_8
.LBB114_4:
                                        ; implicit-def: $vgpr8_vgpr9
.LBB114_5:
	s_load_b32 s0, s[6:7], 0x800
	v_cmp_ne_u32_e32 vcc_lo, 0x7f, v0
	s_wait_loadcnt 0x0
	ds_store_b32 v1, v6 offset:512
	s_wait_dscnt 0x0
	s_barrier_signal -1
	s_barrier_wait -1
	s_wait_kmcnt 0x0
	v_mov_b32_e32 v0, s0
	s_and_saveexec_b32 s0, vcc_lo
; %bb.6:
	ds_load_b32 v0, v1 offset:516
; %bb.7:
	s_or_b32 exec_lo, exec_lo, s0
	s_wait_dscnt 0x0
	v_dual_lshlrev_b32 v0, 1, v0 :: v_dual_sub_nc_u32 v2, v5, v6
	v_sub_nc_u32_e32 v5, v10, v7
	s_delay_alu instid0(VALU_DEP_2) | instskip(NEXT) | instid1(VALU_DEP_2)
	v_dual_sub_nc_u32 v3, v11, v3 :: v_dual_sub_nc_u32 v0, v0, v4
	v_perm_b32 v8, v5, v2, 0x5040100
	s_delay_alu instid0(VALU_DEP_2)
	v_perm_b32 v9, v0, v3, 0x5040100
.LBB114_8:
	v_lshlrev_b32_e32 v0, 1, v1
	s_lshl_b64 s[0:1], s[4:5], 1
	s_delay_alu instid0(SALU_CYCLE_1)
	s_add_nc_u64 s[0:1], s[2:3], s[0:1]
	global_store_b64 v0, v[8:9], s[0:1]
	s_endpgm
	.section	.rodata,"a",@progbits
	.p2align	6, 0x0
	.amdhsa_kernel _Z21subtract_right_kernelIiss10custom_op2Lj128ELj4EEvPKT_PT1_
		.amdhsa_group_segment_fixed_size 1024
		.amdhsa_private_segment_fixed_size 0
		.amdhsa_kernarg_size 16
		.amdhsa_user_sgpr_count 2
		.amdhsa_user_sgpr_dispatch_ptr 0
		.amdhsa_user_sgpr_queue_ptr 0
		.amdhsa_user_sgpr_kernarg_segment_ptr 1
		.amdhsa_user_sgpr_dispatch_id 0
		.amdhsa_user_sgpr_kernarg_preload_length 0
		.amdhsa_user_sgpr_kernarg_preload_offset 0
		.amdhsa_user_sgpr_private_segment_size 0
		.amdhsa_wavefront_size32 1
		.amdhsa_uses_dynamic_stack 0
		.amdhsa_enable_private_segment 0
		.amdhsa_system_sgpr_workgroup_id_x 1
		.amdhsa_system_sgpr_workgroup_id_y 0
		.amdhsa_system_sgpr_workgroup_id_z 0
		.amdhsa_system_sgpr_workgroup_info 0
		.amdhsa_system_vgpr_workitem_id 0
		.amdhsa_next_free_vgpr 12
		.amdhsa_next_free_sgpr 9
		.amdhsa_named_barrier_count 0
		.amdhsa_reserve_vcc 1
		.amdhsa_float_round_mode_32 0
		.amdhsa_float_round_mode_16_64 0
		.amdhsa_float_denorm_mode_32 3
		.amdhsa_float_denorm_mode_16_64 3
		.amdhsa_fp16_overflow 0
		.amdhsa_memory_ordered 1
		.amdhsa_forward_progress 1
		.amdhsa_inst_pref_size 4
		.amdhsa_round_robin_scheduling 0
		.amdhsa_exception_fp_ieee_invalid_op 0
		.amdhsa_exception_fp_denorm_src 0
		.amdhsa_exception_fp_ieee_div_zero 0
		.amdhsa_exception_fp_ieee_overflow 0
		.amdhsa_exception_fp_ieee_underflow 0
		.amdhsa_exception_fp_ieee_inexact 0
		.amdhsa_exception_int_div_zero 0
	.end_amdhsa_kernel
	.section	.text._Z21subtract_right_kernelIiss10custom_op2Lj128ELj4EEvPKT_PT1_,"axG",@progbits,_Z21subtract_right_kernelIiss10custom_op2Lj128ELj4EEvPKT_PT1_,comdat
.Lfunc_end114:
	.size	_Z21subtract_right_kernelIiss10custom_op2Lj128ELj4EEvPKT_PT1_, .Lfunc_end114-_Z21subtract_right_kernelIiss10custom_op2Lj128ELj4EEvPKT_PT1_
                                        ; -- End function
	.set _Z21subtract_right_kernelIiss10custom_op2Lj128ELj4EEvPKT_PT1_.num_vgpr, 12
	.set _Z21subtract_right_kernelIiss10custom_op2Lj128ELj4EEvPKT_PT1_.num_agpr, 0
	.set _Z21subtract_right_kernelIiss10custom_op2Lj128ELj4EEvPKT_PT1_.numbered_sgpr, 9
	.set _Z21subtract_right_kernelIiss10custom_op2Lj128ELj4EEvPKT_PT1_.num_named_barrier, 0
	.set _Z21subtract_right_kernelIiss10custom_op2Lj128ELj4EEvPKT_PT1_.private_seg_size, 0
	.set _Z21subtract_right_kernelIiss10custom_op2Lj128ELj4EEvPKT_PT1_.uses_vcc, 1
	.set _Z21subtract_right_kernelIiss10custom_op2Lj128ELj4EEvPKT_PT1_.uses_flat_scratch, 0
	.set _Z21subtract_right_kernelIiss10custom_op2Lj128ELj4EEvPKT_PT1_.has_dyn_sized_stack, 0
	.set _Z21subtract_right_kernelIiss10custom_op2Lj128ELj4EEvPKT_PT1_.has_recursion, 0
	.set _Z21subtract_right_kernelIiss10custom_op2Lj128ELj4EEvPKT_PT1_.has_indirect_call, 0
	.section	.AMDGPU.csdata,"",@progbits
; Kernel info:
; codeLenInByte = 440
; TotalNumSgprs: 11
; NumVgprs: 12
; ScratchSize: 0
; MemoryBound: 0
; FloatMode: 240
; IeeeMode: 1
; LDSByteSize: 1024 bytes/workgroup (compile time only)
; SGPRBlocks: 0
; VGPRBlocks: 0
; NumSGPRsForWavesPerEU: 11
; NumVGPRsForWavesPerEU: 12
; NamedBarCnt: 0
; Occupancy: 16
; WaveLimiterHint : 0
; COMPUTE_PGM_RSRC2:SCRATCH_EN: 0
; COMPUTE_PGM_RSRC2:USER_SGPR: 2
; COMPUTE_PGM_RSRC2:TRAP_HANDLER: 0
; COMPUTE_PGM_RSRC2:TGID_X_EN: 1
; COMPUTE_PGM_RSRC2:TGID_Y_EN: 0
; COMPUTE_PGM_RSRC2:TGID_Z_EN: 0
; COMPUTE_PGM_RSRC2:TIDIG_COMP_CNT: 0
	.section	.text._Z21subtract_right_kernelIicc10custom_op1Lj64ELj2EEvPKT_PT1_,"axG",@progbits,_Z21subtract_right_kernelIicc10custom_op1Lj64ELj2EEvPKT_PT1_,comdat
	.protected	_Z21subtract_right_kernelIicc10custom_op1Lj64ELj2EEvPKT_PT1_ ; -- Begin function _Z21subtract_right_kernelIicc10custom_op1Lj64ELj2EEvPKT_PT1_
	.globl	_Z21subtract_right_kernelIicc10custom_op1Lj64ELj2EEvPKT_PT1_
	.p2align	8
	.type	_Z21subtract_right_kernelIicc10custom_op1Lj64ELj2EEvPKT_PT1_,@function
_Z21subtract_right_kernelIicc10custom_op1Lj64ELj2EEvPKT_PT1_: ; @_Z21subtract_right_kernelIicc10custom_op1Lj64ELj2EEvPKT_PT1_
; %bb.0:
	s_load_b128 s[0:3], s[0:1], 0x0
	s_bfe_u32 s4, ttmp6, 0x4000c
	s_and_b32 s5, ttmp6, 15
	s_add_co_i32 s4, s4, 1
	s_getreg_b32 s6, hwreg(HW_REG_IB_STS2, 6, 4)
	s_mul_i32 s4, ttmp9, s4
	s_delay_alu instid0(SALU_CYCLE_1) | instskip(SKIP_4) | instid1(SALU_CYCLE_1)
	s_add_co_i32 s5, s5, s4
	s_cmp_eq_u32 s6, 0
	s_cselect_b32 s8, ttmp9, s5
	s_mov_b32 s5, 0
	s_lshl_b32 s4, s8, 7
	s_lshl_b64 s[6:7], s[4:5], 2
	s_bitcmp1_b32 s8, 0
	s_wait_kmcnt 0x0
	s_add_nc_u64 s[6:7], s[0:1], s[6:7]
	s_cselect_b32 s0, -1, 0
	global_load_b64 v[2:3], v0, s[6:7] scale_offset
	v_lshlrev_b32_e32 v6, 2, v0
	s_and_b32 vcc_lo, exec_lo, s0
	v_cmp_ne_u32_e64 s0, 63, v0
	s_wait_loadcnt 0x0
	v_sub_nc_u32_e32 v1, v2, v3
	s_cbranch_vccz .LBB115_5
; %bb.1:
	s_delay_alu instid0(VALU_DEP_1)
	v_perm_b32 v7, v1, v3, 0xc0c0004
	ds_store_b32 v6, v2 offset:256
	s_wait_dscnt 0x0
	s_barrier_signal -1
	s_barrier_wait -1
	s_and_saveexec_b32 s1, s0
	s_cbranch_execz .LBB115_3
; %bb.2:
	ds_load_b32 v4, v6 offset:260
	s_wait_dscnt 0x0
	v_sub_nc_u32_e32 v4, v3, v4
	s_delay_alu instid0(VALU_DEP_1) | instskip(NEXT) | instid1(VALU_DEP_1)
	v_lshlrev_b16 v4, 8, v4
	v_bitop3_b16 v4, v7, v4, 0xff bitop3:0xec
	s_delay_alu instid0(VALU_DEP_1)
	v_and_b32_e32 v7, 0xffff, v4
.LBB115_3:
	s_or_b32 exec_lo, exec_lo, s1
	v_dual_mov_b32 v5, 0 :: v_dual_lshlrev_b32 v4, 1, v0
	s_cbranch_execz .LBB115_6
; %bb.4:
	s_add_nc_u64 s[0:1], s[2:3], s[4:5]
	s_delay_alu instid0(VALU_DEP_1) | instid1(SALU_CYCLE_1)
	v_add_nc_u64_e32 v[0:1], s[0:1], v[4:5]
	global_store_b16 v[0:1], v7, off
	s_endpgm
.LBB115_5:
                                        ; implicit-def: $vgpr7
	v_dual_mov_b32 v5, 0 :: v_dual_lshlrev_b32 v4, 1, v0
.LBB115_6:
	s_load_b32 s0, s[6:7], 0x200
	v_cmp_ne_u32_e32 vcc_lo, 63, v0
	ds_store_b32 v6, v2 offset:256
	s_wait_dscnt 0x0
	s_barrier_signal -1
	s_barrier_wait -1
	s_wait_kmcnt 0x0
	v_mov_b32_e32 v0, s0
	s_and_saveexec_b32 s0, vcc_lo
; %bb.7:
	ds_load_b32 v0, v6 offset:260
; %bb.8:
	s_or_b32 exec_lo, exec_lo, s0
	s_wait_dscnt 0x0
	v_sub_nc_u32_e32 v0, v3, v0
	s_delay_alu instid0(VALU_DEP_1) | instskip(NEXT) | instid1(VALU_DEP_1)
	v_lshlrev_b16 v0, 8, v0
	v_bitop3_b16 v0, v1, v0, 0xff bitop3:0xec
	s_delay_alu instid0(VALU_DEP_1) | instskip(SKIP_1) | instid1(SALU_CYCLE_1)
	v_and_b32_e32 v7, 0xffff, v0
	s_add_nc_u64 s[0:1], s[2:3], s[4:5]
	v_add_nc_u64_e32 v[0:1], s[0:1], v[4:5]
	global_store_b16 v[0:1], v7, off
	s_endpgm
	.section	.rodata,"a",@progbits
	.p2align	6, 0x0
	.amdhsa_kernel _Z21subtract_right_kernelIicc10custom_op1Lj64ELj2EEvPKT_PT1_
		.amdhsa_group_segment_fixed_size 512
		.amdhsa_private_segment_fixed_size 0
		.amdhsa_kernarg_size 16
		.amdhsa_user_sgpr_count 2
		.amdhsa_user_sgpr_dispatch_ptr 0
		.amdhsa_user_sgpr_queue_ptr 0
		.amdhsa_user_sgpr_kernarg_segment_ptr 1
		.amdhsa_user_sgpr_dispatch_id 0
		.amdhsa_user_sgpr_kernarg_preload_length 0
		.amdhsa_user_sgpr_kernarg_preload_offset 0
		.amdhsa_user_sgpr_private_segment_size 0
		.amdhsa_wavefront_size32 1
		.amdhsa_uses_dynamic_stack 0
		.amdhsa_enable_private_segment 0
		.amdhsa_system_sgpr_workgroup_id_x 1
		.amdhsa_system_sgpr_workgroup_id_y 0
		.amdhsa_system_sgpr_workgroup_id_z 0
		.amdhsa_system_sgpr_workgroup_info 0
		.amdhsa_system_vgpr_workitem_id 0
		.amdhsa_next_free_vgpr 8
		.amdhsa_next_free_sgpr 9
		.amdhsa_named_barrier_count 0
		.amdhsa_reserve_vcc 1
		.amdhsa_float_round_mode_32 0
		.amdhsa_float_round_mode_16_64 0
		.amdhsa_float_denorm_mode_32 3
		.amdhsa_float_denorm_mode_16_64 3
		.amdhsa_fp16_overflow 0
		.amdhsa_memory_ordered 1
		.amdhsa_forward_progress 1
		.amdhsa_inst_pref_size 4
		.amdhsa_round_robin_scheduling 0
		.amdhsa_exception_fp_ieee_invalid_op 0
		.amdhsa_exception_fp_denorm_src 0
		.amdhsa_exception_fp_ieee_div_zero 0
		.amdhsa_exception_fp_ieee_overflow 0
		.amdhsa_exception_fp_ieee_underflow 0
		.amdhsa_exception_fp_ieee_inexact 0
		.amdhsa_exception_int_div_zero 0
	.end_amdhsa_kernel
	.section	.text._Z21subtract_right_kernelIicc10custom_op1Lj64ELj2EEvPKT_PT1_,"axG",@progbits,_Z21subtract_right_kernelIicc10custom_op1Lj64ELj2EEvPKT_PT1_,comdat
.Lfunc_end115:
	.size	_Z21subtract_right_kernelIicc10custom_op1Lj64ELj2EEvPKT_PT1_, .Lfunc_end115-_Z21subtract_right_kernelIicc10custom_op1Lj64ELj2EEvPKT_PT1_
                                        ; -- End function
	.set _Z21subtract_right_kernelIicc10custom_op1Lj64ELj2EEvPKT_PT1_.num_vgpr, 8
	.set _Z21subtract_right_kernelIicc10custom_op1Lj64ELj2EEvPKT_PT1_.num_agpr, 0
	.set _Z21subtract_right_kernelIicc10custom_op1Lj64ELj2EEvPKT_PT1_.numbered_sgpr, 9
	.set _Z21subtract_right_kernelIicc10custom_op1Lj64ELj2EEvPKT_PT1_.num_named_barrier, 0
	.set _Z21subtract_right_kernelIicc10custom_op1Lj64ELj2EEvPKT_PT1_.private_seg_size, 0
	.set _Z21subtract_right_kernelIicc10custom_op1Lj64ELj2EEvPKT_PT1_.uses_vcc, 1
	.set _Z21subtract_right_kernelIicc10custom_op1Lj64ELj2EEvPKT_PT1_.uses_flat_scratch, 0
	.set _Z21subtract_right_kernelIicc10custom_op1Lj64ELj2EEvPKT_PT1_.has_dyn_sized_stack, 0
	.set _Z21subtract_right_kernelIicc10custom_op1Lj64ELj2EEvPKT_PT1_.has_recursion, 0
	.set _Z21subtract_right_kernelIicc10custom_op1Lj64ELj2EEvPKT_PT1_.has_indirect_call, 0
	.section	.AMDGPU.csdata,"",@progbits
; Kernel info:
; codeLenInByte = 388
; TotalNumSgprs: 11
; NumVgprs: 8
; ScratchSize: 0
; MemoryBound: 0
; FloatMode: 240
; IeeeMode: 1
; LDSByteSize: 512 bytes/workgroup (compile time only)
; SGPRBlocks: 0
; VGPRBlocks: 0
; NumSGPRsForWavesPerEU: 11
; NumVGPRsForWavesPerEU: 8
; NamedBarCnt: 0
; Occupancy: 16
; WaveLimiterHint : 0
; COMPUTE_PGM_RSRC2:SCRATCH_EN: 0
; COMPUTE_PGM_RSRC2:USER_SGPR: 2
; COMPUTE_PGM_RSRC2:TRAP_HANDLER: 0
; COMPUTE_PGM_RSRC2:TGID_X_EN: 1
; COMPUTE_PGM_RSRC2:TGID_Y_EN: 0
; COMPUTE_PGM_RSRC2:TGID_Z_EN: 0
; COMPUTE_PGM_RSRC2:TIDIG_COMP_CNT: 0
	.section	.text._Z21subtract_right_kernelIhbiN6hipcub3SumELj255ELj1EEvPKT_PT1_,"axG",@progbits,_Z21subtract_right_kernelIhbiN6hipcub3SumELj255ELj1EEvPKT_PT1_,comdat
	.protected	_Z21subtract_right_kernelIhbiN6hipcub3SumELj255ELj1EEvPKT_PT1_ ; -- Begin function _Z21subtract_right_kernelIhbiN6hipcub3SumELj255ELj1EEvPKT_PT1_
	.globl	_Z21subtract_right_kernelIhbiN6hipcub3SumELj255ELj1EEvPKT_PT1_
	.p2align	8
	.type	_Z21subtract_right_kernelIhbiN6hipcub3SumELj255ELj1EEvPKT_PT1_,@function
_Z21subtract_right_kernelIhbiN6hipcub3SumELj255ELj1EEvPKT_PT1_: ; @_Z21subtract_right_kernelIhbiN6hipcub3SumELj255ELj1EEvPKT_PT1_
; %bb.0:
	s_load_b128 s[4:7], s[0:1], 0x0
	s_wait_xcnt 0x0
	s_bfe_u32 s0, ttmp6, 0x4000c
	s_and_b32 s1, ttmp6, 15
	s_add_co_i32 s0, s0, 1
	s_getreg_b32 s2, hwreg(HW_REG_IB_STS2, 6, 4)
	s_mul_i32 s0, ttmp9, s0
	s_mov_b32 s3, 0
	s_add_co_i32 s1, s1, s0
	s_cmp_eq_u32 s2, 0
	s_cselect_b32 s8, ttmp9, s1
	s_delay_alu instid0(SALU_CYCLE_1)
	s_mul_i32 s2, s8, 0xff
	s_bitcmp1_b32 s8, 0
	s_wait_kmcnt 0x0
	s_add_nc_u64 s[0:1], s[4:5], s[2:3]
	global_load_u8 v1, v0, s[0:1]
	s_wait_xcnt 0x0
	s_cselect_b32 s0, -1, 0
	s_delay_alu instid0(SALU_CYCLE_1)
	s_and_b32 vcc_lo, exec_lo, s0
	v_cmp_ne_u32_e64 s0, 0xfe, v0
	s_cbranch_vccz .LBB116_4
; %bb.1:
	s_wait_loadcnt 0x0
	v_mov_b32_e32 v2, v1
	ds_store_b8 v0, v1 offset:255
	s_wait_dscnt 0x0
	s_barrier_signal -1
	s_barrier_wait -1
	s_and_saveexec_b32 s1, s0
	s_cbranch_execz .LBB116_3
; %bb.2:
	ds_load_u8 v2, v0 offset:256
	s_wait_dscnt 0x0
	v_or_b32_e32 v2, v2, v1
.LBB116_3:
	s_or_b32 exec_lo, exec_lo, s1
	s_cbranch_execz .LBB116_5
	s_branch .LBB116_8
.LBB116_4:
                                        ; implicit-def: $vgpr2
.LBB116_5:
	s_add_co_i32 s0, s2, 0xff
	s_wait_loadcnt 0x0
	ds_store_b8 v0, v1 offset:255
	v_mov_b32_e32 v2, s0
	s_mov_b32 s0, exec_lo
	global_load_u8 v2, v2, s[4:5]
	s_wait_loadcnt_dscnt 0x0
	s_barrier_signal -1
	s_barrier_wait -1
	v_cmpx_ne_u32_e32 0xfe, v0
; %bb.6:
	ds_load_u8 v2, v0 offset:256
; %bb.7:
	s_or_b32 exec_lo, exec_lo, s0
	s_wait_dscnt 0x0
	v_or_b32_e32 v2, v2, v1
.LBB116_8:
	s_wait_loadcnt 0x0
	s_delay_alu instid0(VALU_DEP_1) | instskip(SKIP_1) | instid1(SALU_CYCLE_1)
	v_and_b32_e32 v1, 0xff, v2
	s_lshl_b64 s[0:1], s[2:3], 2
	s_add_nc_u64 s[0:1], s[6:7], s[0:1]
	s_delay_alu instid0(VALU_DEP_1)
	v_cmp_ne_u16_e32 vcc_lo, 0, v1
	v_cndmask_b32_e64 v1, 0, 1, vcc_lo
	global_store_b32 v0, v1, s[0:1] scale_offset
	s_endpgm
	.section	.rodata,"a",@progbits
	.p2align	6, 0x0
	.amdhsa_kernel _Z21subtract_right_kernelIhbiN6hipcub3SumELj255ELj1EEvPKT_PT1_
		.amdhsa_group_segment_fixed_size 510
		.amdhsa_private_segment_fixed_size 0
		.amdhsa_kernarg_size 16
		.amdhsa_user_sgpr_count 2
		.amdhsa_user_sgpr_dispatch_ptr 0
		.amdhsa_user_sgpr_queue_ptr 0
		.amdhsa_user_sgpr_kernarg_segment_ptr 1
		.amdhsa_user_sgpr_dispatch_id 0
		.amdhsa_user_sgpr_kernarg_preload_length 0
		.amdhsa_user_sgpr_kernarg_preload_offset 0
		.amdhsa_user_sgpr_private_segment_size 0
		.amdhsa_wavefront_size32 1
		.amdhsa_uses_dynamic_stack 0
		.amdhsa_enable_private_segment 0
		.amdhsa_system_sgpr_workgroup_id_x 1
		.amdhsa_system_sgpr_workgroup_id_y 0
		.amdhsa_system_sgpr_workgroup_id_z 0
		.amdhsa_system_sgpr_workgroup_info 0
		.amdhsa_system_vgpr_workitem_id 0
		.amdhsa_next_free_vgpr 3
		.amdhsa_next_free_sgpr 9
		.amdhsa_named_barrier_count 0
		.amdhsa_reserve_vcc 1
		.amdhsa_float_round_mode_32 0
		.amdhsa_float_round_mode_16_64 0
		.amdhsa_float_denorm_mode_32 3
		.amdhsa_float_denorm_mode_16_64 3
		.amdhsa_fp16_overflow 0
		.amdhsa_memory_ordered 1
		.amdhsa_forward_progress 1
		.amdhsa_inst_pref_size 3
		.amdhsa_round_robin_scheduling 0
		.amdhsa_exception_fp_ieee_invalid_op 0
		.amdhsa_exception_fp_denorm_src 0
		.amdhsa_exception_fp_ieee_div_zero 0
		.amdhsa_exception_fp_ieee_overflow 0
		.amdhsa_exception_fp_ieee_underflow 0
		.amdhsa_exception_fp_ieee_inexact 0
		.amdhsa_exception_int_div_zero 0
	.end_amdhsa_kernel
	.section	.text._Z21subtract_right_kernelIhbiN6hipcub3SumELj255ELj1EEvPKT_PT1_,"axG",@progbits,_Z21subtract_right_kernelIhbiN6hipcub3SumELj255ELj1EEvPKT_PT1_,comdat
.Lfunc_end116:
	.size	_Z21subtract_right_kernelIhbiN6hipcub3SumELj255ELj1EEvPKT_PT1_, .Lfunc_end116-_Z21subtract_right_kernelIhbiN6hipcub3SumELj255ELj1EEvPKT_PT1_
                                        ; -- End function
	.set _Z21subtract_right_kernelIhbiN6hipcub3SumELj255ELj1EEvPKT_PT1_.num_vgpr, 3
	.set _Z21subtract_right_kernelIhbiN6hipcub3SumELj255ELj1EEvPKT_PT1_.num_agpr, 0
	.set _Z21subtract_right_kernelIhbiN6hipcub3SumELj255ELj1EEvPKT_PT1_.numbered_sgpr, 9
	.set _Z21subtract_right_kernelIhbiN6hipcub3SumELj255ELj1EEvPKT_PT1_.num_named_barrier, 0
	.set _Z21subtract_right_kernelIhbiN6hipcub3SumELj255ELj1EEvPKT_PT1_.private_seg_size, 0
	.set _Z21subtract_right_kernelIhbiN6hipcub3SumELj255ELj1EEvPKT_PT1_.uses_vcc, 1
	.set _Z21subtract_right_kernelIhbiN6hipcub3SumELj255ELj1EEvPKT_PT1_.uses_flat_scratch, 0
	.set _Z21subtract_right_kernelIhbiN6hipcub3SumELj255ELj1EEvPKT_PT1_.has_dyn_sized_stack, 0
	.set _Z21subtract_right_kernelIhbiN6hipcub3SumELj255ELj1EEvPKT_PT1_.has_recursion, 0
	.set _Z21subtract_right_kernelIhbiN6hipcub3SumELj255ELj1EEvPKT_PT1_.has_indirect_call, 0
	.section	.AMDGPU.csdata,"",@progbits
; Kernel info:
; codeLenInByte = 320
; TotalNumSgprs: 11
; NumVgprs: 3
; ScratchSize: 0
; MemoryBound: 0
; FloatMode: 240
; IeeeMode: 1
; LDSByteSize: 510 bytes/workgroup (compile time only)
; SGPRBlocks: 0
; VGPRBlocks: 0
; NumSGPRsForWavesPerEU: 11
; NumVGPRsForWavesPerEU: 3
; NamedBarCnt: 0
; Occupancy: 16
; WaveLimiterHint : 0
; COMPUTE_PGM_RSRC2:SCRATCH_EN: 0
; COMPUTE_PGM_RSRC2:USER_SGPR: 2
; COMPUTE_PGM_RSRC2:TRAP_HANDLER: 0
; COMPUTE_PGM_RSRC2:TGID_X_EN: 1
; COMPUTE_PGM_RSRC2:TGID_Y_EN: 0
; COMPUTE_PGM_RSRC2:TGID_Z_EN: 0
; COMPUTE_PGM_RSRC2:TIDIG_COMP_CNT: 0
	.section	.text._Z21subtract_right_kernelIjxx10custom_op2Lj162ELj1EEvPKT_PT1_,"axG",@progbits,_Z21subtract_right_kernelIjxx10custom_op2Lj162ELj1EEvPKT_PT1_,comdat
	.protected	_Z21subtract_right_kernelIjxx10custom_op2Lj162ELj1EEvPKT_PT1_ ; -- Begin function _Z21subtract_right_kernelIjxx10custom_op2Lj162ELj1EEvPKT_PT1_
	.globl	_Z21subtract_right_kernelIjxx10custom_op2Lj162ELj1EEvPKT_PT1_
	.p2align	8
	.type	_Z21subtract_right_kernelIjxx10custom_op2Lj162ELj1EEvPKT_PT1_,@function
_Z21subtract_right_kernelIjxx10custom_op2Lj162ELj1EEvPKT_PT1_: ; @_Z21subtract_right_kernelIjxx10custom_op2Lj162ELj1EEvPKT_PT1_
; %bb.0:
	s_load_b128 s[4:7], s[0:1], 0x0
	s_wait_xcnt 0x0
	s_bfe_u32 s0, ttmp6, 0x4000c
	s_and_b32 s1, ttmp6, 15
	s_add_co_i32 s0, s0, 1
	s_getreg_b32 s2, hwreg(HW_REG_IB_STS2, 6, 4)
	s_mul_i32 s0, ttmp9, s0
	s_mov_b32 s3, 0
	s_add_co_i32 s1, s1, s0
	s_cmp_eq_u32 s2, 0
	v_lshlrev_b32_e32 v3, 2, v0
	s_cselect_b32 s8, ttmp9, s1
	s_delay_alu instid0(SALU_CYCLE_1) | instskip(NEXT) | instid1(SALU_CYCLE_1)
	s_mul_i32 s2, s8, 0xa2
	s_lshl_b64 s[0:1], s[2:3], 2
	s_bitcmp1_b32 s8, 0
	s_wait_kmcnt 0x0
	s_add_nc_u64 s[0:1], s[4:5], s[0:1]
	global_load_b32 v1, v0, s[0:1] scale_offset
	s_wait_xcnt 0x0
	s_cselect_b32 s0, -1, 0
	s_delay_alu instid0(SALU_CYCLE_1)
	s_and_b32 vcc_lo, exec_lo, s0
	v_cmp_ne_u32_e64 s0, 0xa1, v0
	s_cbranch_vccz .LBB117_4
; %bb.1:
	s_wait_loadcnt 0x0
	v_mov_b32_e32 v2, v1
	ds_store_b32 v3, v1 offset:648
	s_wait_dscnt 0x0
	s_barrier_signal -1
	s_barrier_wait -1
	s_and_saveexec_b32 s1, s0
	s_cbranch_execz .LBB117_3
; %bb.2:
	ds_load_b32 v2, v3 offset:652
	s_wait_dscnt 0x0
	v_lshlrev_b32_e32 v2, 1, v2
	s_delay_alu instid0(VALU_DEP_1)
	v_sub_nc_u32_e32 v2, v2, v1
.LBB117_3:
	s_or_b32 exec_lo, exec_lo, s1
	s_cbranch_execz .LBB117_5
	s_branch .LBB117_8
.LBB117_4:
                                        ; implicit-def: $vgpr2
.LBB117_5:
	s_add_co_i32 s0, s2, 0xa2
	s_wait_loadcnt 0x0
	ds_store_b32 v3, v1 offset:648
	s_load_b32 s0, s[4:5], s0 offset:0x0 scale_offset
	s_wait_dscnt 0x0
	s_barrier_signal -1
	s_barrier_wait -1
	s_wait_kmcnt 0x0
	v_mov_b32_e32 v2, s0
	s_mov_b32 s0, exec_lo
	v_cmpx_ne_u32_e32 0xa1, v0
; %bb.6:
	ds_load_b32 v2, v3 offset:652
; %bb.7:
	s_or_b32 exec_lo, exec_lo, s0
	s_wait_dscnt 0x0
	v_lshlrev_b32_e32 v2, 1, v2
	s_delay_alu instid0(VALU_DEP_1)
	v_sub_nc_u32_e32 v2, v2, v1
.LBB117_8:
	v_mov_b32_e32 v3, 0
	s_lshl_b64 s[0:1], s[2:3], 3
	s_delay_alu instid0(SALU_CYCLE_1)
	s_add_nc_u64 s[0:1], s[6:7], s[0:1]
	global_store_b64 v0, v[2:3], s[0:1] scale_offset
	s_endpgm
	.section	.rodata,"a",@progbits
	.p2align	6, 0x0
	.amdhsa_kernel _Z21subtract_right_kernelIjxx10custom_op2Lj162ELj1EEvPKT_PT1_
		.amdhsa_group_segment_fixed_size 1296
		.amdhsa_private_segment_fixed_size 0
		.amdhsa_kernarg_size 16
		.amdhsa_user_sgpr_count 2
		.amdhsa_user_sgpr_dispatch_ptr 0
		.amdhsa_user_sgpr_queue_ptr 0
		.amdhsa_user_sgpr_kernarg_segment_ptr 1
		.amdhsa_user_sgpr_dispatch_id 0
		.amdhsa_user_sgpr_kernarg_preload_length 0
		.amdhsa_user_sgpr_kernarg_preload_offset 0
		.amdhsa_user_sgpr_private_segment_size 0
		.amdhsa_wavefront_size32 1
		.amdhsa_uses_dynamic_stack 0
		.amdhsa_enable_private_segment 0
		.amdhsa_system_sgpr_workgroup_id_x 1
		.amdhsa_system_sgpr_workgroup_id_y 0
		.amdhsa_system_sgpr_workgroup_id_z 0
		.amdhsa_system_sgpr_workgroup_info 0
		.amdhsa_system_vgpr_workitem_id 0
		.amdhsa_next_free_vgpr 4
		.amdhsa_next_free_sgpr 9
		.amdhsa_named_barrier_count 0
		.amdhsa_reserve_vcc 1
		.amdhsa_float_round_mode_32 0
		.amdhsa_float_round_mode_16_64 0
		.amdhsa_float_denorm_mode_32 3
		.amdhsa_float_denorm_mode_16_64 3
		.amdhsa_fp16_overflow 0
		.amdhsa_memory_ordered 1
		.amdhsa_forward_progress 1
		.amdhsa_inst_pref_size 3
		.amdhsa_round_robin_scheduling 0
		.amdhsa_exception_fp_ieee_invalid_op 0
		.amdhsa_exception_fp_denorm_src 0
		.amdhsa_exception_fp_ieee_div_zero 0
		.amdhsa_exception_fp_ieee_overflow 0
		.amdhsa_exception_fp_ieee_underflow 0
		.amdhsa_exception_fp_ieee_inexact 0
		.amdhsa_exception_int_div_zero 0
	.end_amdhsa_kernel
	.section	.text._Z21subtract_right_kernelIjxx10custom_op2Lj162ELj1EEvPKT_PT1_,"axG",@progbits,_Z21subtract_right_kernelIjxx10custom_op2Lj162ELj1EEvPKT_PT1_,comdat
.Lfunc_end117:
	.size	_Z21subtract_right_kernelIjxx10custom_op2Lj162ELj1EEvPKT_PT1_, .Lfunc_end117-_Z21subtract_right_kernelIjxx10custom_op2Lj162ELj1EEvPKT_PT1_
                                        ; -- End function
	.set _Z21subtract_right_kernelIjxx10custom_op2Lj162ELj1EEvPKT_PT1_.num_vgpr, 4
	.set _Z21subtract_right_kernelIjxx10custom_op2Lj162ELj1EEvPKT_PT1_.num_agpr, 0
	.set _Z21subtract_right_kernelIjxx10custom_op2Lj162ELj1EEvPKT_PT1_.numbered_sgpr, 9
	.set _Z21subtract_right_kernelIjxx10custom_op2Lj162ELj1EEvPKT_PT1_.num_named_barrier, 0
	.set _Z21subtract_right_kernelIjxx10custom_op2Lj162ELj1EEvPKT_PT1_.private_seg_size, 0
	.set _Z21subtract_right_kernelIjxx10custom_op2Lj162ELj1EEvPKT_PT1_.uses_vcc, 1
	.set _Z21subtract_right_kernelIjxx10custom_op2Lj162ELj1EEvPKT_PT1_.uses_flat_scratch, 0
	.set _Z21subtract_right_kernelIjxx10custom_op2Lj162ELj1EEvPKT_PT1_.has_dyn_sized_stack, 0
	.set _Z21subtract_right_kernelIjxx10custom_op2Lj162ELj1EEvPKT_PT1_.has_recursion, 0
	.set _Z21subtract_right_kernelIjxx10custom_op2Lj162ELj1EEvPKT_PT1_.has_indirect_call, 0
	.section	.AMDGPU.csdata,"",@progbits
; Kernel info:
; codeLenInByte = 320
; TotalNumSgprs: 11
; NumVgprs: 4
; ScratchSize: 0
; MemoryBound: 0
; FloatMode: 240
; IeeeMode: 1
; LDSByteSize: 1296 bytes/workgroup (compile time only)
; SGPRBlocks: 0
; VGPRBlocks: 0
; NumSGPRsForWavesPerEU: 11
; NumVGPRsForWavesPerEU: 4
; NamedBarCnt: 0
; Occupancy: 16
; WaveLimiterHint : 0
; COMPUTE_PGM_RSRC2:SCRATCH_EN: 0
; COMPUTE_PGM_RSRC2:USER_SGPR: 2
; COMPUTE_PGM_RSRC2:TRAP_HANDLER: 0
; COMPUTE_PGM_RSRC2:TGID_X_EN: 1
; COMPUTE_PGM_RSRC2:TGID_Y_EN: 0
; COMPUTE_PGM_RSRC2:TGID_Z_EN: 0
; COMPUTE_PGM_RSRC2:TIDIG_COMP_CNT: 0
	.section	.text._Z21subtract_right_kernelIxcc10custom_op1Lj510ELj1EEvPKT_PT1_,"axG",@progbits,_Z21subtract_right_kernelIxcc10custom_op1Lj510ELj1EEvPKT_PT1_,comdat
	.protected	_Z21subtract_right_kernelIxcc10custom_op1Lj510ELj1EEvPKT_PT1_ ; -- Begin function _Z21subtract_right_kernelIxcc10custom_op1Lj510ELj1EEvPKT_PT1_
	.globl	_Z21subtract_right_kernelIxcc10custom_op1Lj510ELj1EEvPKT_PT1_
	.p2align	8
	.type	_Z21subtract_right_kernelIxcc10custom_op1Lj510ELj1EEvPKT_PT1_,@function
_Z21subtract_right_kernelIxcc10custom_op1Lj510ELj1EEvPKT_PT1_: ; @_Z21subtract_right_kernelIxcc10custom_op1Lj510ELj1EEvPKT_PT1_
; %bb.0:
	s_load_b128 s[4:7], s[0:1], 0x0
	s_wait_xcnt 0x0
	s_bfe_u32 s0, ttmp6, 0x4000c
	s_and_b32 s1, ttmp6, 15
	s_add_co_i32 s0, s0, 1
	s_getreg_b32 s2, hwreg(HW_REG_IB_STS2, 6, 4)
	s_mul_i32 s0, ttmp9, s0
	s_mov_b32 s3, 0
	s_add_co_i32 s1, s1, s0
	s_cmp_eq_u32 s2, 0
	v_dual_mov_b32 v1, 0 :: v_dual_lshlrev_b32 v6, 3, v0
	s_cselect_b32 s8, ttmp9, s1
	s_delay_alu instid0(SALU_CYCLE_1) | instskip(NEXT) | instid1(SALU_CYCLE_1)
	s_mul_i32 s2, s8, 0x1fe
	s_lshl_b64 s[0:1], s[2:3], 3
	s_bitcmp1_b32 s8, 0
	s_wait_kmcnt 0x0
	s_add_nc_u64 s[0:1], s[4:5], s[0:1]
	global_load_b64 v[2:3], v0, s[0:1] scale_offset
	s_wait_xcnt 0x0
	s_cselect_b32 s0, -1, 0
	s_delay_alu instid0(SALU_CYCLE_1)
	s_and_b32 vcc_lo, exec_lo, s0
	v_cmp_ne_u32_e64 s0, 0x1fd, v0
	s_cbranch_vccz .LBB118_5
; %bb.1:
	s_wait_loadcnt 0x0
	v_mov_b64_e32 v[4:5], v[2:3]
	ds_store_b64 v6, v[2:3] offset:4080
	s_wait_dscnt 0x0
	s_barrier_signal -1
	s_barrier_wait -1
	s_and_saveexec_b32 s1, s0
	s_cbranch_execz .LBB118_3
; %bb.2:
	ds_load_b64 v[4:5], v6 offset:4088
	s_wait_dscnt 0x0
	v_sub_nc_u64_e32 v[4:5], v[2:3], v[4:5]
.LBB118_3:
	s_or_b32 exec_lo, exec_lo, s1
	s_cbranch_execz .LBB118_6
; %bb.4:
	s_add_nc_u64 s[0:1], s[6:7], s[2:3]
	s_delay_alu instid0(SALU_CYCLE_1)
	v_add_nc_u64_e32 v[0:1], s[0:1], v[0:1]
	global_store_b8 v[0:1], v4, off
	s_endpgm
.LBB118_5:
                                        ; implicit-def: $vgpr4_vgpr5
.LBB118_6:
	s_add_co_i32 s0, s2, 0x1fe
	s_wait_loadcnt 0x0
	ds_store_b64 v6, v[2:3] offset:4080
	s_load_b64 s[0:1], s[4:5], s0 offset:0x0 scale_offset
	s_wait_dscnt 0x0
	s_barrier_signal -1
	s_barrier_wait -1
	s_wait_kmcnt 0x0
	v_mov_b64_e32 v[4:5], s[0:1]
	s_mov_b32 s0, exec_lo
	v_cmpx_ne_u32_e32 0x1fd, v0
; %bb.7:
	ds_load_b64 v[4:5], v6 offset:4088
; %bb.8:
	s_or_b32 exec_lo, exec_lo, s0
	s_wait_dscnt 0x0
	v_sub_nc_u64_e32 v[4:5], v[2:3], v[4:5]
	s_add_nc_u64 s[0:1], s[6:7], s[2:3]
	s_delay_alu instid0(SALU_CYCLE_1)
	v_add_nc_u64_e32 v[0:1], s[0:1], v[0:1]
	global_store_b8 v[0:1], v4, off
	s_endpgm
	.section	.rodata,"a",@progbits
	.p2align	6, 0x0
	.amdhsa_kernel _Z21subtract_right_kernelIxcc10custom_op1Lj510ELj1EEvPKT_PT1_
		.amdhsa_group_segment_fixed_size 8160
		.amdhsa_private_segment_fixed_size 0
		.amdhsa_kernarg_size 16
		.amdhsa_user_sgpr_count 2
		.amdhsa_user_sgpr_dispatch_ptr 0
		.amdhsa_user_sgpr_queue_ptr 0
		.amdhsa_user_sgpr_kernarg_segment_ptr 1
		.amdhsa_user_sgpr_dispatch_id 0
		.amdhsa_user_sgpr_kernarg_preload_length 0
		.amdhsa_user_sgpr_kernarg_preload_offset 0
		.amdhsa_user_sgpr_private_segment_size 0
		.amdhsa_wavefront_size32 1
		.amdhsa_uses_dynamic_stack 0
		.amdhsa_enable_private_segment 0
		.amdhsa_system_sgpr_workgroup_id_x 1
		.amdhsa_system_sgpr_workgroup_id_y 0
		.amdhsa_system_sgpr_workgroup_id_z 0
		.amdhsa_system_sgpr_workgroup_info 0
		.amdhsa_system_vgpr_workitem_id 0
		.amdhsa_next_free_vgpr 7
		.amdhsa_next_free_sgpr 9
		.amdhsa_named_barrier_count 0
		.amdhsa_reserve_vcc 1
		.amdhsa_float_round_mode_32 0
		.amdhsa_float_round_mode_16_64 0
		.amdhsa_float_denorm_mode_32 3
		.amdhsa_float_denorm_mode_16_64 3
		.amdhsa_fp16_overflow 0
		.amdhsa_memory_ordered 1
		.amdhsa_forward_progress 1
		.amdhsa_inst_pref_size 3
		.amdhsa_round_robin_scheduling 0
		.amdhsa_exception_fp_ieee_invalid_op 0
		.amdhsa_exception_fp_denorm_src 0
		.amdhsa_exception_fp_ieee_div_zero 0
		.amdhsa_exception_fp_ieee_overflow 0
		.amdhsa_exception_fp_ieee_underflow 0
		.amdhsa_exception_fp_ieee_inexact 0
		.amdhsa_exception_int_div_zero 0
	.end_amdhsa_kernel
	.section	.text._Z21subtract_right_kernelIxcc10custom_op1Lj510ELj1EEvPKT_PT1_,"axG",@progbits,_Z21subtract_right_kernelIxcc10custom_op1Lj510ELj1EEvPKT_PT1_,comdat
.Lfunc_end118:
	.size	_Z21subtract_right_kernelIxcc10custom_op1Lj510ELj1EEvPKT_PT1_, .Lfunc_end118-_Z21subtract_right_kernelIxcc10custom_op1Lj510ELj1EEvPKT_PT1_
                                        ; -- End function
	.set _Z21subtract_right_kernelIxcc10custom_op1Lj510ELj1EEvPKT_PT1_.num_vgpr, 7
	.set _Z21subtract_right_kernelIxcc10custom_op1Lj510ELj1EEvPKT_PT1_.num_agpr, 0
	.set _Z21subtract_right_kernelIxcc10custom_op1Lj510ELj1EEvPKT_PT1_.numbered_sgpr, 9
	.set _Z21subtract_right_kernelIxcc10custom_op1Lj510ELj1EEvPKT_PT1_.num_named_barrier, 0
	.set _Z21subtract_right_kernelIxcc10custom_op1Lj510ELj1EEvPKT_PT1_.private_seg_size, 0
	.set _Z21subtract_right_kernelIxcc10custom_op1Lj510ELj1EEvPKT_PT1_.uses_vcc, 1
	.set _Z21subtract_right_kernelIxcc10custom_op1Lj510ELj1EEvPKT_PT1_.uses_flat_scratch, 0
	.set _Z21subtract_right_kernelIxcc10custom_op1Lj510ELj1EEvPKT_PT1_.has_dyn_sized_stack, 0
	.set _Z21subtract_right_kernelIxcc10custom_op1Lj510ELj1EEvPKT_PT1_.has_recursion, 0
	.set _Z21subtract_right_kernelIxcc10custom_op1Lj510ELj1EEvPKT_PT1_.has_indirect_call, 0
	.section	.AMDGPU.csdata,"",@progbits
; Kernel info:
; codeLenInByte = 328
; TotalNumSgprs: 11
; NumVgprs: 7
; ScratchSize: 0
; MemoryBound: 0
; FloatMode: 240
; IeeeMode: 1
; LDSByteSize: 8160 bytes/workgroup (compile time only)
; SGPRBlocks: 0
; VGPRBlocks: 0
; NumSGPRsForWavesPerEU: 11
; NumVGPRsForWavesPerEU: 7
; NamedBarCnt: 0
; Occupancy: 16
; WaveLimiterHint : 0
; COMPUTE_PGM_RSRC2:SCRATCH_EN: 0
; COMPUTE_PGM_RSRC2:USER_SGPR: 2
; COMPUTE_PGM_RSRC2:TRAP_HANDLER: 0
; COMPUTE_PGM_RSRC2:TGID_X_EN: 1
; COMPUTE_PGM_RSRC2:TGID_Y_EN: 0
; COMPUTE_PGM_RSRC2:TGID_Z_EN: 0
; COMPUTE_PGM_RSRC2:TIDIG_COMP_CNT: 0
	.section	.text._Z21subtract_right_kernelIfiiN6hipcub3SumELj37ELj1EEvPKT_PT1_,"axG",@progbits,_Z21subtract_right_kernelIfiiN6hipcub3SumELj37ELj1EEvPKT_PT1_,comdat
	.protected	_Z21subtract_right_kernelIfiiN6hipcub3SumELj37ELj1EEvPKT_PT1_ ; -- Begin function _Z21subtract_right_kernelIfiiN6hipcub3SumELj37ELj1EEvPKT_PT1_
	.globl	_Z21subtract_right_kernelIfiiN6hipcub3SumELj37ELj1EEvPKT_PT1_
	.p2align	8
	.type	_Z21subtract_right_kernelIfiiN6hipcub3SumELj37ELj1EEvPKT_PT1_,@function
_Z21subtract_right_kernelIfiiN6hipcub3SumELj37ELj1EEvPKT_PT1_: ; @_Z21subtract_right_kernelIfiiN6hipcub3SumELj37ELj1EEvPKT_PT1_
; %bb.0:
	s_load_b128 s[4:7], s[0:1], 0x0
	s_wait_xcnt 0x0
	s_bfe_u32 s0, ttmp6, 0x4000c
	s_and_b32 s1, ttmp6, 15
	s_add_co_i32 s0, s0, 1
	s_getreg_b32 s2, hwreg(HW_REG_IB_STS2, 6, 4)
	s_mul_i32 s0, ttmp9, s0
	s_mov_b32 s9, 0
	s_add_co_i32 s1, s1, s0
	s_cmp_eq_u32 s2, 0
	v_lshlrev_b32_e32 v2, 2, v0
	s_cselect_b32 s10, ttmp9, s1
	s_delay_alu instid0(SALU_CYCLE_1) | instskip(NEXT) | instid1(SALU_CYCLE_1)
	s_mul_i32 s8, s10, 37
	s_lshl_b64 s[2:3], s[8:9], 2
	s_bitcmp1_b32 s10, 0
	s_wait_kmcnt 0x0
	s_add_nc_u64 s[0:1], s[4:5], s[2:3]
	global_load_b32 v1, v0, s[0:1] scale_offset
	s_wait_xcnt 0x0
	s_cselect_b32 s0, -1, 0
	s_delay_alu instid0(SALU_CYCLE_1)
	s_and_b32 vcc_lo, exec_lo, s0
	v_cmp_ne_u32_e64 s0, 36, v0
	s_cbranch_vccz .LBB119_5
; %bb.1:
	s_wait_loadcnt 0x0
	v_mov_b32_e32 v3, v1
	ds_store_b32 v2, v1 offset:148
	s_wait_dscnt 0x0
	s_barrier_signal -1
	s_barrier_wait -1
	s_and_saveexec_b32 s1, s0
	s_cbranch_execz .LBB119_3
; %bb.2:
	ds_load_b32 v3, v2 offset:152
	s_wait_dscnt 0x0
	v_add_f32_e32 v3, v1, v3
.LBB119_3:
	s_or_b32 exec_lo, exec_lo, s1
	s_cbranch_execz .LBB119_6
; %bb.4:
	s_wait_loadcnt 0x0
	s_delay_alu instid0(VALU_DEP_1)
	v_cvt_i32_f32_e32 v1, v3
	s_add_nc_u64 s[0:1], s[6:7], s[2:3]
	global_store_b32 v0, v1, s[0:1] scale_offset
	s_endpgm
.LBB119_5:
                                        ; implicit-def: $vgpr3
.LBB119_6:
	s_add_co_i32 s0, s8, 37
	s_wait_loadcnt 0x0
	ds_store_b32 v2, v1 offset:148
	s_load_b32 s0, s[4:5], s0 offset:0x0 scale_offset
	s_wait_dscnt 0x0
	s_barrier_signal -1
	s_barrier_wait -1
	s_wait_kmcnt 0x0
	v_mov_b32_e32 v3, s0
	s_mov_b32 s0, exec_lo
	v_cmpx_ne_u32_e32 36, v0
; %bb.7:
	ds_load_b32 v3, v2 offset:152
; %bb.8:
	s_or_b32 exec_lo, exec_lo, s0
	s_wait_dscnt 0x0
	v_add_f32_e32 v3, v1, v3
	s_delay_alu instid0(VALU_DEP_1)
	v_cvt_i32_f32_e32 v1, v3
	s_add_nc_u64 s[0:1], s[6:7], s[2:3]
	global_store_b32 v0, v1, s[0:1] scale_offset
	s_endpgm
	.section	.rodata,"a",@progbits
	.p2align	6, 0x0
	.amdhsa_kernel _Z21subtract_right_kernelIfiiN6hipcub3SumELj37ELj1EEvPKT_PT1_
		.amdhsa_group_segment_fixed_size 296
		.amdhsa_private_segment_fixed_size 0
		.amdhsa_kernarg_size 16
		.amdhsa_user_sgpr_count 2
		.amdhsa_user_sgpr_dispatch_ptr 0
		.amdhsa_user_sgpr_queue_ptr 0
		.amdhsa_user_sgpr_kernarg_segment_ptr 1
		.amdhsa_user_sgpr_dispatch_id 0
		.amdhsa_user_sgpr_kernarg_preload_length 0
		.amdhsa_user_sgpr_kernarg_preload_offset 0
		.amdhsa_user_sgpr_private_segment_size 0
		.amdhsa_wavefront_size32 1
		.amdhsa_uses_dynamic_stack 0
		.amdhsa_enable_private_segment 0
		.amdhsa_system_sgpr_workgroup_id_x 1
		.amdhsa_system_sgpr_workgroup_id_y 0
		.amdhsa_system_sgpr_workgroup_id_z 0
		.amdhsa_system_sgpr_workgroup_info 0
		.amdhsa_system_vgpr_workitem_id 0
		.amdhsa_next_free_vgpr 4
		.amdhsa_next_free_sgpr 11
		.amdhsa_named_barrier_count 0
		.amdhsa_reserve_vcc 1
		.amdhsa_float_round_mode_32 0
		.amdhsa_float_round_mode_16_64 0
		.amdhsa_float_denorm_mode_32 3
		.amdhsa_float_denorm_mode_16_64 3
		.amdhsa_fp16_overflow 0
		.amdhsa_memory_ordered 1
		.amdhsa_forward_progress 1
		.amdhsa_inst_pref_size 3
		.amdhsa_round_robin_scheduling 0
		.amdhsa_exception_fp_ieee_invalid_op 0
		.amdhsa_exception_fp_denorm_src 0
		.amdhsa_exception_fp_ieee_div_zero 0
		.amdhsa_exception_fp_ieee_overflow 0
		.amdhsa_exception_fp_ieee_underflow 0
		.amdhsa_exception_fp_ieee_inexact 0
		.amdhsa_exception_int_div_zero 0
	.end_amdhsa_kernel
	.section	.text._Z21subtract_right_kernelIfiiN6hipcub3SumELj37ELj1EEvPKT_PT1_,"axG",@progbits,_Z21subtract_right_kernelIfiiN6hipcub3SumELj37ELj1EEvPKT_PT1_,comdat
.Lfunc_end119:
	.size	_Z21subtract_right_kernelIfiiN6hipcub3SumELj37ELj1EEvPKT_PT1_, .Lfunc_end119-_Z21subtract_right_kernelIfiiN6hipcub3SumELj37ELj1EEvPKT_PT1_
                                        ; -- End function
	.set _Z21subtract_right_kernelIfiiN6hipcub3SumELj37ELj1EEvPKT_PT1_.num_vgpr, 4
	.set _Z21subtract_right_kernelIfiiN6hipcub3SumELj37ELj1EEvPKT_PT1_.num_agpr, 0
	.set _Z21subtract_right_kernelIfiiN6hipcub3SumELj37ELj1EEvPKT_PT1_.numbered_sgpr, 11
	.set _Z21subtract_right_kernelIfiiN6hipcub3SumELj37ELj1EEvPKT_PT1_.num_named_barrier, 0
	.set _Z21subtract_right_kernelIfiiN6hipcub3SumELj37ELj1EEvPKT_PT1_.private_seg_size, 0
	.set _Z21subtract_right_kernelIfiiN6hipcub3SumELj37ELj1EEvPKT_PT1_.uses_vcc, 1
	.set _Z21subtract_right_kernelIfiiN6hipcub3SumELj37ELj1EEvPKT_PT1_.uses_flat_scratch, 0
	.set _Z21subtract_right_kernelIfiiN6hipcub3SumELj37ELj1EEvPKT_PT1_.has_dyn_sized_stack, 0
	.set _Z21subtract_right_kernelIfiiN6hipcub3SumELj37ELj1EEvPKT_PT1_.has_recursion, 0
	.set _Z21subtract_right_kernelIfiiN6hipcub3SumELj37ELj1EEvPKT_PT1_.has_indirect_call, 0
	.section	.AMDGPU.csdata,"",@progbits
; Kernel info:
; codeLenInByte = 312
; TotalNumSgprs: 13
; NumVgprs: 4
; ScratchSize: 0
; MemoryBound: 0
; FloatMode: 240
; IeeeMode: 1
; LDSByteSize: 296 bytes/workgroup (compile time only)
; SGPRBlocks: 0
; VGPRBlocks: 0
; NumSGPRsForWavesPerEU: 13
; NumVGPRsForWavesPerEU: 4
; NamedBarCnt: 0
; Occupancy: 16
; WaveLimiterHint : 0
; COMPUTE_PGM_RSRC2:SCRATCH_EN: 0
; COMPUTE_PGM_RSRC2:USER_SGPR: 2
; COMPUTE_PGM_RSRC2:TRAP_HANDLER: 0
; COMPUTE_PGM_RSRC2:TGID_X_EN: 1
; COMPUTE_PGM_RSRC2:TGID_Y_EN: 0
; COMPUTE_PGM_RSRC2:TGID_Z_EN: 0
; COMPUTE_PGM_RSRC2:TIDIG_COMP_CNT: 0
	.section	.text._Z21subtract_right_kernelIibi10custom_op1Lj256ELj1EEvPKT_PT1_,"axG",@progbits,_Z21subtract_right_kernelIibi10custom_op1Lj256ELj1EEvPKT_PT1_,comdat
	.protected	_Z21subtract_right_kernelIibi10custom_op1Lj256ELj1EEvPKT_PT1_ ; -- Begin function _Z21subtract_right_kernelIibi10custom_op1Lj256ELj1EEvPKT_PT1_
	.globl	_Z21subtract_right_kernelIibi10custom_op1Lj256ELj1EEvPKT_PT1_
	.p2align	8
	.type	_Z21subtract_right_kernelIibi10custom_op1Lj256ELj1EEvPKT_PT1_,@function
_Z21subtract_right_kernelIibi10custom_op1Lj256ELj1EEvPKT_PT1_: ; @_Z21subtract_right_kernelIibi10custom_op1Lj256ELj1EEvPKT_PT1_
; %bb.0:
	s_load_b128 s[0:3], s[0:1], 0x0
	s_bfe_u32 s4, ttmp6, 0x4000c
	s_and_b32 s5, ttmp6, 15
	s_add_co_i32 s4, s4, 1
	s_getreg_b32 s6, hwreg(HW_REG_IB_STS2, 6, 4)
	s_mul_i32 s4, ttmp9, s4
	s_mov_b32 s7, 0
	s_add_co_i32 s5, s5, s4
	s_cmp_eq_u32 s6, 0
	v_lshlrev_b32_e32 v2, 2, v0
	s_cselect_b32 s10, ttmp9, s5
	s_delay_alu instid0(SALU_CYCLE_1) | instskip(NEXT) | instid1(SALU_CYCLE_1)
	s_lshl_b32 s6, s10, 8
	s_lshl_b64 s[4:5], s[6:7], 2
	s_bitcmp1_b32 s10, 0
	s_mov_b32 s6, -1
	s_wait_kmcnt 0x0
	s_add_nc_u64 s[8:9], s[0:1], s[4:5]
	s_cselect_b32 s0, -1, 0
	global_load_b32 v1, v0, s[8:9] scale_offset
	s_and_b32 vcc_lo, exec_lo, s0
	v_cmp_ne_u32_e64 s0, 0xff, v0
	s_mov_b32 s1, 0
	s_cbranch_vccnz .LBB120_5
; %bb.1:
	s_and_not1_b32 vcc_lo, exec_lo, s6
	s_cbranch_vccz .LBB120_6
.LBB120_2:
	v_mov_b32_e32 v3, s7
	s_wait_xcnt 0x0
	s_and_saveexec_b32 s0, s1
.LBB120_3:
	ds_load_b32 v3, v2 offset:1028
.LBB120_4:
	s_or_b32 exec_lo, exec_lo, s0
	s_wait_loadcnt_dscnt 0x0
	v_cmp_ne_u32_e32 vcc_lo, v1, v3
	s_add_nc_u64 s[0:1], s[2:3], s[4:5]
	v_cndmask_b32_e64 v1, 0, 1, vcc_lo
	global_store_b32 v0, v1, s[0:1] scale_offset
	s_endpgm
.LBB120_5:
	s_wait_loadcnt 0x0
	ds_store_b32 v2, v1 offset:1024
	s_wait_dscnt 0x0
	s_barrier_signal -1
	s_barrier_wait -1
	s_and_b32 s1, s0, exec_lo
	s_cbranch_execnz .LBB120_2
.LBB120_6:
	s_load_b32 s7, s[8:9], 0x400
	v_cmp_ne_u32_e32 vcc_lo, 0xff, v0
	s_and_not1_b32 s0, s1, exec_lo
	s_wait_loadcnt 0x0
	ds_store_b32 v2, v1 offset:1024
	s_wait_dscnt 0x0
	s_barrier_signal -1
	s_and_b32 s1, vcc_lo, exec_lo
	s_barrier_wait -1
	s_or_b32 s1, s0, s1
	s_wait_kmcnt 0x0
	v_mov_b32_e32 v3, s7
	s_and_saveexec_b32 s0, s1
	s_cbranch_execnz .LBB120_3
	s_branch .LBB120_4
	.section	.rodata,"a",@progbits
	.p2align	6, 0x0
	.amdhsa_kernel _Z21subtract_right_kernelIibi10custom_op1Lj256ELj1EEvPKT_PT1_
		.amdhsa_group_segment_fixed_size 2048
		.amdhsa_private_segment_fixed_size 0
		.amdhsa_kernarg_size 16
		.amdhsa_user_sgpr_count 2
		.amdhsa_user_sgpr_dispatch_ptr 0
		.amdhsa_user_sgpr_queue_ptr 0
		.amdhsa_user_sgpr_kernarg_segment_ptr 1
		.amdhsa_user_sgpr_dispatch_id 0
		.amdhsa_user_sgpr_kernarg_preload_length 0
		.amdhsa_user_sgpr_kernarg_preload_offset 0
		.amdhsa_user_sgpr_private_segment_size 0
		.amdhsa_wavefront_size32 1
		.amdhsa_uses_dynamic_stack 0
		.amdhsa_enable_private_segment 0
		.amdhsa_system_sgpr_workgroup_id_x 1
		.amdhsa_system_sgpr_workgroup_id_y 0
		.amdhsa_system_sgpr_workgroup_id_z 0
		.amdhsa_system_sgpr_workgroup_info 0
		.amdhsa_system_vgpr_workitem_id 0
		.amdhsa_next_free_vgpr 4
		.amdhsa_next_free_sgpr 11
		.amdhsa_named_barrier_count 0
		.amdhsa_reserve_vcc 1
		.amdhsa_float_round_mode_32 0
		.amdhsa_float_round_mode_16_64 0
		.amdhsa_float_denorm_mode_32 3
		.amdhsa_float_denorm_mode_16_64 3
		.amdhsa_fp16_overflow 0
		.amdhsa_memory_ordered 1
		.amdhsa_forward_progress 1
		.amdhsa_inst_pref_size 3
		.amdhsa_round_robin_scheduling 0
		.amdhsa_exception_fp_ieee_invalid_op 0
		.amdhsa_exception_fp_denorm_src 0
		.amdhsa_exception_fp_ieee_div_zero 0
		.amdhsa_exception_fp_ieee_overflow 0
		.amdhsa_exception_fp_ieee_underflow 0
		.amdhsa_exception_fp_ieee_inexact 0
		.amdhsa_exception_int_div_zero 0
	.end_amdhsa_kernel
	.section	.text._Z21subtract_right_kernelIibi10custom_op1Lj256ELj1EEvPKT_PT1_,"axG",@progbits,_Z21subtract_right_kernelIibi10custom_op1Lj256ELj1EEvPKT_PT1_,comdat
.Lfunc_end120:
	.size	_Z21subtract_right_kernelIibi10custom_op1Lj256ELj1EEvPKT_PT1_, .Lfunc_end120-_Z21subtract_right_kernelIibi10custom_op1Lj256ELj1EEvPKT_PT1_
                                        ; -- End function
	.set _Z21subtract_right_kernelIibi10custom_op1Lj256ELj1EEvPKT_PT1_.num_vgpr, 4
	.set _Z21subtract_right_kernelIibi10custom_op1Lj256ELj1EEvPKT_PT1_.num_agpr, 0
	.set _Z21subtract_right_kernelIibi10custom_op1Lj256ELj1EEvPKT_PT1_.numbered_sgpr, 11
	.set _Z21subtract_right_kernelIibi10custom_op1Lj256ELj1EEvPKT_PT1_.num_named_barrier, 0
	.set _Z21subtract_right_kernelIibi10custom_op1Lj256ELj1EEvPKT_PT1_.private_seg_size, 0
	.set _Z21subtract_right_kernelIibi10custom_op1Lj256ELj1EEvPKT_PT1_.uses_vcc, 1
	.set _Z21subtract_right_kernelIibi10custom_op1Lj256ELj1EEvPKT_PT1_.uses_flat_scratch, 0
	.set _Z21subtract_right_kernelIibi10custom_op1Lj256ELj1EEvPKT_PT1_.has_dyn_sized_stack, 0
	.set _Z21subtract_right_kernelIibi10custom_op1Lj256ELj1EEvPKT_PT1_.has_recursion, 0
	.set _Z21subtract_right_kernelIibi10custom_op1Lj256ELj1EEvPKT_PT1_.has_indirect_call, 0
	.section	.AMDGPU.csdata,"",@progbits
; Kernel info:
; codeLenInByte = 292
; TotalNumSgprs: 13
; NumVgprs: 4
; ScratchSize: 0
; MemoryBound: 0
; FloatMode: 240
; IeeeMode: 1
; LDSByteSize: 2048 bytes/workgroup (compile time only)
; SGPRBlocks: 0
; VGPRBlocks: 0
; NumSGPRsForWavesPerEU: 13
; NumVGPRsForWavesPerEU: 4
; NamedBarCnt: 0
; Occupancy: 16
; WaveLimiterHint : 0
; COMPUTE_PGM_RSRC2:SCRATCH_EN: 0
; COMPUTE_PGM_RSRC2:USER_SGPR: 2
; COMPUTE_PGM_RSRC2:TRAP_HANDLER: 0
; COMPUTE_PGM_RSRC2:TGID_X_EN: 1
; COMPUTE_PGM_RSRC2:TGID_Y_EN: 0
; COMPUTE_PGM_RSRC2:TGID_Z_EN: 0
; COMPUTE_PGM_RSRC2:TIDIG_COMP_CNT: 0
	.section	.text._Z21subtract_right_kernelI12hip_bfloat16ii10custom_op2Lj256ELj1EEvPKT_PT1_,"axG",@progbits,_Z21subtract_right_kernelI12hip_bfloat16ii10custom_op2Lj256ELj1EEvPKT_PT1_,comdat
	.protected	_Z21subtract_right_kernelI12hip_bfloat16ii10custom_op2Lj256ELj1EEvPKT_PT1_ ; -- Begin function _Z21subtract_right_kernelI12hip_bfloat16ii10custom_op2Lj256ELj1EEvPKT_PT1_
	.globl	_Z21subtract_right_kernelI12hip_bfloat16ii10custom_op2Lj256ELj1EEvPKT_PT1_
	.p2align	8
	.type	_Z21subtract_right_kernelI12hip_bfloat16ii10custom_op2Lj256ELj1EEvPKT_PT1_,@function
_Z21subtract_right_kernelI12hip_bfloat16ii10custom_op2Lj256ELj1EEvPKT_PT1_: ; @_Z21subtract_right_kernelI12hip_bfloat16ii10custom_op2Lj256ELj1EEvPKT_PT1_
; %bb.0:
	s_load_b128 s[0:3], s[0:1], 0x0
	s_bfe_u32 s4, ttmp6, 0x4000c
	s_and_b32 s5, ttmp6, 15
	s_add_co_i32 s4, s4, 1
	s_getreg_b32 s6, hwreg(HW_REG_IB_STS2, 6, 4)
	s_mul_i32 s4, ttmp9, s4
	s_delay_alu instid0(SALU_CYCLE_1) | instskip(SKIP_4) | instid1(SALU_CYCLE_1)
	s_add_co_i32 s5, s5, s4
	s_cmp_eq_u32 s6, 0
	s_cselect_b32 s8, ttmp9, s5
	s_mov_b32 s5, 0
	s_lshl_b32 s4, s8, 8
	s_lshl_b64 s[6:7], s[4:5], 1
	s_bitcmp1_b32 s8, 0
	s_wait_kmcnt 0x0
	s_add_nc_u64 s[6:7], s[0:1], s[6:7]
	s_cselect_b32 s0, -1, 0
	global_load_u16 v3, v0, s[6:7] scale_offset
	v_lshlrev_b32_e32 v2, 1, v0
	s_and_b32 vcc_lo, exec_lo, s0
	v_cmp_ne_u32_e64 s0, 0xff, v0
	s_wait_loadcnt 0x0
	v_lshlrev_b32_e32 v1, 16, v3
	s_cbranch_vccz .LBB121_12
; %bb.1:
	s_delay_alu instid0(VALU_DEP_1)
	v_mov_b32_e32 v4, v1
	ds_store_b16 v2, v3 offset:512
	s_wait_dscnt 0x0
	s_barrier_signal -1
	s_barrier_wait -1
	s_and_saveexec_b32 s1, s0
	s_cbranch_execz .LBB121_11
; %bb.2:
	ds_load_u16 v4, v2 offset:514
	s_wait_dscnt 0x0
	v_lshlrev_b32_e32 v4, 16, v4
	s_delay_alu instid0(VALU_DEP_1) | instskip(NEXT) | instid1(VALU_DEP_1)
	v_add_f32_e32 v4, v4, v4
	v_and_b32_e32 v5, 0x7f800000, v4
	s_delay_alu instid0(VALU_DEP_1) | instskip(SKIP_1) | instid1(SALU_CYCLE_1)
	v_cmp_ne_u32_e32 vcc_lo, 0x7f800000, v5
                                        ; implicit-def: $vgpr5
	s_and_saveexec_b32 s0, vcc_lo
	s_xor_b32 s0, exec_lo, s0
; %bb.3:
	v_bfe_u32 v5, v4, 16, 1
	s_delay_alu instid0(VALU_DEP_1)
	v_add3_u32 v5, v4, v5, 0x7fff
                                        ; implicit-def: $vgpr4
; %bb.4:
	s_and_not1_saveexec_b32 s0, s0
; %bb.5:
	v_and_b32_e32 v5, 0xffff, v4
	v_or_b32_e32 v6, 0x10000, v4
	s_delay_alu instid0(VALU_DEP_2) | instskip(NEXT) | instid1(VALU_DEP_2)
	v_cmp_eq_u32_e32 vcc_lo, 0, v5
	v_cndmask_b32_e32 v5, v6, v4, vcc_lo
; %bb.6:
	s_or_b32 exec_lo, exec_lo, s0
	s_delay_alu instid0(VALU_DEP_1) | instskip(NEXT) | instid1(VALU_DEP_1)
	v_and_b32_e32 v4, 0xffff0000, v5
	v_sub_f32_e32 v4, v4, v1
	s_delay_alu instid0(VALU_DEP_1) | instskip(NEXT) | instid1(VALU_DEP_1)
	v_and_b32_e32 v5, 0x7f800000, v4
	v_cmp_ne_u32_e32 vcc_lo, 0x7f800000, v5
                                        ; implicit-def: $vgpr5
	s_and_saveexec_b32 s0, vcc_lo
	s_delay_alu instid0(SALU_CYCLE_1)
	s_xor_b32 s0, exec_lo, s0
; %bb.7:
	v_bfe_u32 v5, v4, 16, 1
	s_delay_alu instid0(VALU_DEP_1)
	v_add3_u32 v5, v4, v5, 0x7fff
                                        ; implicit-def: $vgpr4
; %bb.8:
	s_and_not1_saveexec_b32 s0, s0
; %bb.9:
	v_and_b32_e32 v5, 0xffff, v4
	v_or_b32_e32 v6, 0x10000, v4
	s_delay_alu instid0(VALU_DEP_2) | instskip(NEXT) | instid1(VALU_DEP_2)
	v_cmp_eq_u32_e32 vcc_lo, 0, v5
	v_cndmask_b32_e32 v5, v6, v4, vcc_lo
; %bb.10:
	s_or_b32 exec_lo, exec_lo, s0
	s_delay_alu instid0(VALU_DEP_1)
	v_and_b32_e32 v4, 0xffff0000, v5
.LBB121_11:
	s_or_b32 exec_lo, exec_lo, s1
	s_cbranch_execz .LBB121_13
	s_branch .LBB121_24
.LBB121_12:
                                        ; implicit-def: $vgpr4
.LBB121_13:
	v_mov_b32_e32 v4, 0
	s_mov_b32 s0, exec_lo
	ds_store_b16 v2, v3 offset:512
	global_load_u16 v4, v4, s[6:7] offset:512
	s_wait_loadcnt_dscnt 0x0
	s_barrier_signal -1
	s_barrier_wait -1
	v_cmpx_ne_u32_e32 0xff, v0
; %bb.14:
	ds_load_u16 v4, v2 offset:514
; %bb.15:
	s_or_b32 exec_lo, exec_lo, s0
	s_wait_dscnt 0x0
	v_lshlrev_b32_e32 v2, 16, v4
	s_delay_alu instid0(VALU_DEP_1) | instskip(NEXT) | instid1(VALU_DEP_1)
	v_add_f32_e32 v2, v2, v2
	v_and_b32_e32 v3, 0x7f800000, v2
	s_delay_alu instid0(VALU_DEP_1) | instskip(SKIP_1) | instid1(SALU_CYCLE_1)
	v_cmp_ne_u32_e32 vcc_lo, 0x7f800000, v3
                                        ; implicit-def: $vgpr3
	s_and_saveexec_b32 s0, vcc_lo
	s_xor_b32 s0, exec_lo, s0
; %bb.16:
	v_bfe_u32 v3, v2, 16, 1
	s_delay_alu instid0(VALU_DEP_1)
	v_add3_u32 v3, v2, v3, 0x7fff
                                        ; implicit-def: $vgpr2
; %bb.17:
	s_and_not1_saveexec_b32 s0, s0
; %bb.18:
	v_and_b32_e32 v3, 0xffff, v2
	v_or_b32_e32 v4, 0x10000, v2
	s_delay_alu instid0(VALU_DEP_2) | instskip(NEXT) | instid1(VALU_DEP_2)
	v_cmp_eq_u32_e32 vcc_lo, 0, v3
	v_cndmask_b32_e32 v3, v4, v2, vcc_lo
; %bb.19:
	s_or_b32 exec_lo, exec_lo, s0
	s_delay_alu instid0(VALU_DEP_1) | instskip(NEXT) | instid1(VALU_DEP_1)
	v_and_b32_e32 v2, 0xffff0000, v3
	v_sub_f32_e32 v1, v2, v1
	s_delay_alu instid0(VALU_DEP_1) | instskip(NEXT) | instid1(VALU_DEP_1)
	v_and_b32_e32 v2, 0x7f800000, v1
	v_cmp_ne_u32_e32 vcc_lo, 0x7f800000, v2
                                        ; implicit-def: $vgpr2
	s_and_saveexec_b32 s0, vcc_lo
	s_delay_alu instid0(SALU_CYCLE_1)
	s_xor_b32 s0, exec_lo, s0
; %bb.20:
	v_bfe_u32 v2, v1, 16, 1
	s_delay_alu instid0(VALU_DEP_1)
	v_add3_u32 v2, v1, v2, 0x7fff
                                        ; implicit-def: $vgpr1
; %bb.21:
	s_and_not1_saveexec_b32 s0, s0
; %bb.22:
	v_and_b32_e32 v2, 0xffff, v1
	v_or_b32_e32 v3, 0x10000, v1
	s_delay_alu instid0(VALU_DEP_2) | instskip(NEXT) | instid1(VALU_DEP_2)
	v_cmp_eq_u32_e32 vcc_lo, 0, v2
	v_cndmask_b32_e32 v2, v3, v1, vcc_lo
; %bb.23:
	s_or_b32 exec_lo, exec_lo, s0
	s_delay_alu instid0(VALU_DEP_1)
	v_and_b32_e32 v4, 0xffff0000, v2
.LBB121_24:
	s_delay_alu instid0(VALU_DEP_1) | instskip(SKIP_1) | instid1(SALU_CYCLE_1)
	v_cvt_i32_f32_e32 v1, v4
	s_lshl_b64 s[0:1], s[4:5], 2
	s_add_nc_u64 s[0:1], s[2:3], s[0:1]
	global_store_b32 v0, v1, s[0:1] scale_offset
	s_endpgm
	.section	.rodata,"a",@progbits
	.p2align	6, 0x0
	.amdhsa_kernel _Z21subtract_right_kernelI12hip_bfloat16ii10custom_op2Lj256ELj1EEvPKT_PT1_
		.amdhsa_group_segment_fixed_size 1024
		.amdhsa_private_segment_fixed_size 0
		.amdhsa_kernarg_size 16
		.amdhsa_user_sgpr_count 2
		.amdhsa_user_sgpr_dispatch_ptr 0
		.amdhsa_user_sgpr_queue_ptr 0
		.amdhsa_user_sgpr_kernarg_segment_ptr 1
		.amdhsa_user_sgpr_dispatch_id 0
		.amdhsa_user_sgpr_kernarg_preload_length 0
		.amdhsa_user_sgpr_kernarg_preload_offset 0
		.amdhsa_user_sgpr_private_segment_size 0
		.amdhsa_wavefront_size32 1
		.amdhsa_uses_dynamic_stack 0
		.amdhsa_enable_private_segment 0
		.amdhsa_system_sgpr_workgroup_id_x 1
		.amdhsa_system_sgpr_workgroup_id_y 0
		.amdhsa_system_sgpr_workgroup_id_z 0
		.amdhsa_system_sgpr_workgroup_info 0
		.amdhsa_system_vgpr_workitem_id 0
		.amdhsa_next_free_vgpr 7
		.amdhsa_next_free_sgpr 9
		.amdhsa_named_barrier_count 0
		.amdhsa_reserve_vcc 1
		.amdhsa_float_round_mode_32 0
		.amdhsa_float_round_mode_16_64 0
		.amdhsa_float_denorm_mode_32 3
		.amdhsa_float_denorm_mode_16_64 3
		.amdhsa_fp16_overflow 0
		.amdhsa_memory_ordered 1
		.amdhsa_forward_progress 1
		.amdhsa_inst_pref_size 6
		.amdhsa_round_robin_scheduling 0
		.amdhsa_exception_fp_ieee_invalid_op 0
		.amdhsa_exception_fp_denorm_src 0
		.amdhsa_exception_fp_ieee_div_zero 0
		.amdhsa_exception_fp_ieee_overflow 0
		.amdhsa_exception_fp_ieee_underflow 0
		.amdhsa_exception_fp_ieee_inexact 0
		.amdhsa_exception_int_div_zero 0
	.end_amdhsa_kernel
	.section	.text._Z21subtract_right_kernelI12hip_bfloat16ii10custom_op2Lj256ELj1EEvPKT_PT1_,"axG",@progbits,_Z21subtract_right_kernelI12hip_bfloat16ii10custom_op2Lj256ELj1EEvPKT_PT1_,comdat
.Lfunc_end121:
	.size	_Z21subtract_right_kernelI12hip_bfloat16ii10custom_op2Lj256ELj1EEvPKT_PT1_, .Lfunc_end121-_Z21subtract_right_kernelI12hip_bfloat16ii10custom_op2Lj256ELj1EEvPKT_PT1_
                                        ; -- End function
	.set _Z21subtract_right_kernelI12hip_bfloat16ii10custom_op2Lj256ELj1EEvPKT_PT1_.num_vgpr, 7
	.set _Z21subtract_right_kernelI12hip_bfloat16ii10custom_op2Lj256ELj1EEvPKT_PT1_.num_agpr, 0
	.set _Z21subtract_right_kernelI12hip_bfloat16ii10custom_op2Lj256ELj1EEvPKT_PT1_.numbered_sgpr, 9
	.set _Z21subtract_right_kernelI12hip_bfloat16ii10custom_op2Lj256ELj1EEvPKT_PT1_.num_named_barrier, 0
	.set _Z21subtract_right_kernelI12hip_bfloat16ii10custom_op2Lj256ELj1EEvPKT_PT1_.private_seg_size, 0
	.set _Z21subtract_right_kernelI12hip_bfloat16ii10custom_op2Lj256ELj1EEvPKT_PT1_.uses_vcc, 1
	.set _Z21subtract_right_kernelI12hip_bfloat16ii10custom_op2Lj256ELj1EEvPKT_PT1_.uses_flat_scratch, 0
	.set _Z21subtract_right_kernelI12hip_bfloat16ii10custom_op2Lj256ELj1EEvPKT_PT1_.has_dyn_sized_stack, 0
	.set _Z21subtract_right_kernelI12hip_bfloat16ii10custom_op2Lj256ELj1EEvPKT_PT1_.has_recursion, 0
	.set _Z21subtract_right_kernelI12hip_bfloat16ii10custom_op2Lj256ELj1EEvPKT_PT1_.has_indirect_call, 0
	.section	.AMDGPU.csdata,"",@progbits
; Kernel info:
; codeLenInByte = 716
; TotalNumSgprs: 11
; NumVgprs: 7
; ScratchSize: 0
; MemoryBound: 0
; FloatMode: 240
; IeeeMode: 1
; LDSByteSize: 1024 bytes/workgroup (compile time only)
; SGPRBlocks: 0
; VGPRBlocks: 0
; NumSGPRsForWavesPerEU: 11
; NumVGPRsForWavesPerEU: 7
; NamedBarCnt: 0
; Occupancy: 16
; WaveLimiterHint : 0
; COMPUTE_PGM_RSRC2:SCRATCH_EN: 0
; COMPUTE_PGM_RSRC2:USER_SGPR: 2
; COMPUTE_PGM_RSRC2:TRAP_HANDLER: 0
; COMPUTE_PGM_RSRC2:TGID_X_EN: 1
; COMPUTE_PGM_RSRC2:TGID_Y_EN: 0
; COMPUTE_PGM_RSRC2:TGID_Z_EN: 0
; COMPUTE_PGM_RSRC2:TIDIG_COMP_CNT: 0
	.section	.text._Z21subtract_right_kernelI6__halfii10custom_op1Lj256ELj1EEvPKT_PT1_,"axG",@progbits,_Z21subtract_right_kernelI6__halfii10custom_op1Lj256ELj1EEvPKT_PT1_,comdat
	.protected	_Z21subtract_right_kernelI6__halfii10custom_op1Lj256ELj1EEvPKT_PT1_ ; -- Begin function _Z21subtract_right_kernelI6__halfii10custom_op1Lj256ELj1EEvPKT_PT1_
	.globl	_Z21subtract_right_kernelI6__halfii10custom_op1Lj256ELj1EEvPKT_PT1_
	.p2align	8
	.type	_Z21subtract_right_kernelI6__halfii10custom_op1Lj256ELj1EEvPKT_PT1_,@function
_Z21subtract_right_kernelI6__halfii10custom_op1Lj256ELj1EEvPKT_PT1_: ; @_Z21subtract_right_kernelI6__halfii10custom_op1Lj256ELj1EEvPKT_PT1_
; %bb.0:
	s_load_b128 s[0:3], s[0:1], 0x0
	s_bfe_u32 s4, ttmp6, 0x4000c
	s_and_b32 s5, ttmp6, 15
	s_add_co_i32 s4, s4, 1
	s_getreg_b32 s6, hwreg(HW_REG_IB_STS2, 6, 4)
	s_mul_i32 s4, ttmp9, s4
	v_lshlrev_b32_e32 v2, 1, v0
	s_add_co_i32 s5, s5, s4
	s_cmp_eq_u32 s6, 0
	s_cselect_b32 s8, ttmp9, s5
	s_mov_b32 s5, 0
	s_lshl_b32 s4, s8, 8
	s_delay_alu instid0(SALU_CYCLE_1)
	s_lshl_b64 s[6:7], s[4:5], 1
	s_bitcmp1_b32 s8, 0
	s_wait_kmcnt 0x0
	s_add_nc_u64 s[6:7], s[0:1], s[6:7]
	s_cselect_b32 s0, -1, 0
	global_load_u16 v1, v0, s[6:7] scale_offset
	s_and_b32 vcc_lo, exec_lo, s0
	v_cmp_ne_u32_e64 s0, 0xff, v0
	s_cbranch_vccz .LBB122_4
; %bb.1:
	s_wait_loadcnt 0x0
	v_mov_b32_e32 v3, v1
	ds_store_b16 v2, v1 offset:512
	s_wait_dscnt 0x0
	s_barrier_signal -1
	s_barrier_wait -1
	s_and_saveexec_b32 s1, s0
	s_cbranch_execz .LBB122_3
; %bb.2:
	ds_load_u16 v3, v2 offset:514
	s_wait_dscnt 0x0
	v_sub_f16_e32 v3, v1, v3
.LBB122_3:
	s_or_b32 exec_lo, exec_lo, s1
	s_cbranch_execz .LBB122_5
	s_branch .LBB122_8
.LBB122_4:
                                        ; implicit-def: $vgpr3
.LBB122_5:
	v_mov_b32_e32 v3, 0
	s_mov_b32 s0, exec_lo
	s_wait_loadcnt 0x0
	ds_store_b16 v2, v1 offset:512
	global_load_u16 v3, v3, s[6:7] offset:512
	s_wait_loadcnt_dscnt 0x0
	s_barrier_signal -1
	s_barrier_wait -1
	v_cmpx_ne_u32_e32 0xff, v0
; %bb.6:
	ds_load_u16 v3, v2 offset:514
; %bb.7:
	s_or_b32 exec_lo, exec_lo, s0
	s_wait_dscnt 0x0
	v_sub_f16_e32 v3, v1, v3
.LBB122_8:
	s_wait_loadcnt 0x0
	s_delay_alu instid0(VALU_DEP_1) | instskip(SKIP_1) | instid1(SALU_CYCLE_1)
	v_cvt_f32_f16_e32 v1, v3
	s_lshl_b64 s[0:1], s[4:5], 2
	s_add_nc_u64 s[0:1], s[2:3], s[0:1]
	s_delay_alu instid0(VALU_DEP_1)
	v_cvt_i32_f32_e32 v1, v1
	global_store_b32 v0, v1, s[0:1] scale_offset
	s_endpgm
	.section	.rodata,"a",@progbits
	.p2align	6, 0x0
	.amdhsa_kernel _Z21subtract_right_kernelI6__halfii10custom_op1Lj256ELj1EEvPKT_PT1_
		.amdhsa_group_segment_fixed_size 1024
		.amdhsa_private_segment_fixed_size 0
		.amdhsa_kernarg_size 16
		.amdhsa_user_sgpr_count 2
		.amdhsa_user_sgpr_dispatch_ptr 0
		.amdhsa_user_sgpr_queue_ptr 0
		.amdhsa_user_sgpr_kernarg_segment_ptr 1
		.amdhsa_user_sgpr_dispatch_id 0
		.amdhsa_user_sgpr_kernarg_preload_length 0
		.amdhsa_user_sgpr_kernarg_preload_offset 0
		.amdhsa_user_sgpr_private_segment_size 0
		.amdhsa_wavefront_size32 1
		.amdhsa_uses_dynamic_stack 0
		.amdhsa_enable_private_segment 0
		.amdhsa_system_sgpr_workgroup_id_x 1
		.amdhsa_system_sgpr_workgroup_id_y 0
		.amdhsa_system_sgpr_workgroup_id_z 0
		.amdhsa_system_sgpr_workgroup_info 0
		.amdhsa_system_vgpr_workitem_id 0
		.amdhsa_next_free_vgpr 4
		.amdhsa_next_free_sgpr 9
		.amdhsa_named_barrier_count 0
		.amdhsa_reserve_vcc 1
		.amdhsa_float_round_mode_32 0
		.amdhsa_float_round_mode_16_64 0
		.amdhsa_float_denorm_mode_32 3
		.amdhsa_float_denorm_mode_16_64 3
		.amdhsa_fp16_overflow 0
		.amdhsa_memory_ordered 1
		.amdhsa_forward_progress 1
		.amdhsa_inst_pref_size 3
		.amdhsa_round_robin_scheduling 0
		.amdhsa_exception_fp_ieee_invalid_op 0
		.amdhsa_exception_fp_denorm_src 0
		.amdhsa_exception_fp_ieee_div_zero 0
		.amdhsa_exception_fp_ieee_overflow 0
		.amdhsa_exception_fp_ieee_underflow 0
		.amdhsa_exception_fp_ieee_inexact 0
		.amdhsa_exception_int_div_zero 0
	.end_amdhsa_kernel
	.section	.text._Z21subtract_right_kernelI6__halfii10custom_op1Lj256ELj1EEvPKT_PT1_,"axG",@progbits,_Z21subtract_right_kernelI6__halfii10custom_op1Lj256ELj1EEvPKT_PT1_,comdat
.Lfunc_end122:
	.size	_Z21subtract_right_kernelI6__halfii10custom_op1Lj256ELj1EEvPKT_PT1_, .Lfunc_end122-_Z21subtract_right_kernelI6__halfii10custom_op1Lj256ELj1EEvPKT_PT1_
                                        ; -- End function
	.set _Z21subtract_right_kernelI6__halfii10custom_op1Lj256ELj1EEvPKT_PT1_.num_vgpr, 4
	.set _Z21subtract_right_kernelI6__halfii10custom_op1Lj256ELj1EEvPKT_PT1_.num_agpr, 0
	.set _Z21subtract_right_kernelI6__halfii10custom_op1Lj256ELj1EEvPKT_PT1_.numbered_sgpr, 9
	.set _Z21subtract_right_kernelI6__halfii10custom_op1Lj256ELj1EEvPKT_PT1_.num_named_barrier, 0
	.set _Z21subtract_right_kernelI6__halfii10custom_op1Lj256ELj1EEvPKT_PT1_.private_seg_size, 0
	.set _Z21subtract_right_kernelI6__halfii10custom_op1Lj256ELj1EEvPKT_PT1_.uses_vcc, 1
	.set _Z21subtract_right_kernelI6__halfii10custom_op1Lj256ELj1EEvPKT_PT1_.uses_flat_scratch, 0
	.set _Z21subtract_right_kernelI6__halfii10custom_op1Lj256ELj1EEvPKT_PT1_.has_dyn_sized_stack, 0
	.set _Z21subtract_right_kernelI6__halfii10custom_op1Lj256ELj1EEvPKT_PT1_.has_recursion, 0
	.set _Z21subtract_right_kernelI6__halfii10custom_op1Lj256ELj1EEvPKT_PT1_.has_indirect_call, 0
	.section	.AMDGPU.csdata,"",@progbits
; Kernel info:
; codeLenInByte = 292
; TotalNumSgprs: 11
; NumVgprs: 4
; ScratchSize: 0
; MemoryBound: 0
; FloatMode: 240
; IeeeMode: 1
; LDSByteSize: 1024 bytes/workgroup (compile time only)
; SGPRBlocks: 0
; VGPRBlocks: 0
; NumSGPRsForWavesPerEU: 11
; NumVGPRsForWavesPerEU: 4
; NamedBarCnt: 0
; Occupancy: 16
; WaveLimiterHint : 0
; COMPUTE_PGM_RSRC2:SCRATCH_EN: 0
; COMPUTE_PGM_RSRC2:USER_SGPR: 2
; COMPUTE_PGM_RSRC2:TRAP_HANDLER: 0
; COMPUTE_PGM_RSRC2:TGID_X_EN: 1
; COMPUTE_PGM_RSRC2:TGID_Y_EN: 0
; COMPUTE_PGM_RSRC2:TGID_Z_EN: 0
; COMPUTE_PGM_RSRC2:TIDIG_COMP_CNT: 0
	.section	.text._Z21subtract_right_kernelIfii10custom_op2Lj256ELj1EEvPKT_PT1_,"axG",@progbits,_Z21subtract_right_kernelIfii10custom_op2Lj256ELj1EEvPKT_PT1_,comdat
	.protected	_Z21subtract_right_kernelIfii10custom_op2Lj256ELj1EEvPKT_PT1_ ; -- Begin function _Z21subtract_right_kernelIfii10custom_op2Lj256ELj1EEvPKT_PT1_
	.globl	_Z21subtract_right_kernelIfii10custom_op2Lj256ELj1EEvPKT_PT1_
	.p2align	8
	.type	_Z21subtract_right_kernelIfii10custom_op2Lj256ELj1EEvPKT_PT1_,@function
_Z21subtract_right_kernelIfii10custom_op2Lj256ELj1EEvPKT_PT1_: ; @_Z21subtract_right_kernelIfii10custom_op2Lj256ELj1EEvPKT_PT1_
; %bb.0:
	s_load_b128 s[0:3], s[0:1], 0x0
	s_bfe_u32 s4, ttmp6, 0x4000c
	s_and_b32 s5, ttmp6, 15
	s_add_co_i32 s4, s4, 1
	s_getreg_b32 s6, hwreg(HW_REG_IB_STS2, 6, 4)
	s_mul_i32 s4, ttmp9, s4
	v_lshlrev_b32_e32 v2, 2, v0
	s_add_co_i32 s5, s5, s4
	s_cmp_eq_u32 s6, 0
	s_cselect_b32 s8, ttmp9, s5
	s_mov_b32 s5, 0
	s_lshl_b32 s4, s8, 8
	s_delay_alu instid0(SALU_CYCLE_1)
	s_lshl_b64 s[4:5], s[4:5], 2
	s_bitcmp1_b32 s8, 0
	s_wait_kmcnt 0x0
	s_add_nc_u64 s[6:7], s[0:1], s[4:5]
	s_cselect_b32 s0, -1, 0
	global_load_b32 v1, v0, s[6:7] scale_offset
	s_and_b32 vcc_lo, exec_lo, s0
	v_cmp_ne_u32_e64 s0, 0xff, v0
	s_cbranch_vccz .LBB123_5
; %bb.1:
	s_wait_loadcnt 0x0
	v_mov_b32_e32 v3, v1
	ds_store_b32 v2, v1 offset:1024
	s_wait_dscnt 0x0
	s_barrier_signal -1
	s_barrier_wait -1
	s_and_saveexec_b32 s1, s0
	s_cbranch_execz .LBB123_3
; %bb.2:
	ds_load_b32 v3, v2 offset:1028
	s_wait_dscnt 0x0
	v_fma_f32 v3, v3, 2.0, -v1
.LBB123_3:
	s_or_b32 exec_lo, exec_lo, s1
	s_cbranch_execz .LBB123_6
; %bb.4:
	s_wait_loadcnt 0x0
	s_delay_alu instid0(VALU_DEP_1)
	v_cvt_i32_f32_e32 v1, v3
	s_add_nc_u64 s[0:1], s[2:3], s[4:5]
	global_store_b32 v0, v1, s[0:1] scale_offset
	s_endpgm
.LBB123_5:
                                        ; implicit-def: $vgpr3
.LBB123_6:
	s_load_b32 s0, s[6:7], 0x400
	s_wait_loadcnt 0x0
	ds_store_b32 v2, v1 offset:1024
	s_wait_dscnt 0x0
	s_barrier_signal -1
	s_barrier_wait -1
	s_wait_kmcnt 0x0
	v_mov_b32_e32 v3, s0
	s_mov_b32 s0, exec_lo
	v_cmpx_ne_u32_e32 0xff, v0
; %bb.7:
	ds_load_b32 v3, v2 offset:1028
; %bb.8:
	s_or_b32 exec_lo, exec_lo, s0
	s_wait_dscnt 0x0
	v_fma_f32 v3, v3, 2.0, -v1
	s_delay_alu instid0(VALU_DEP_1)
	v_cvt_i32_f32_e32 v1, v3
	s_add_nc_u64 s[0:1], s[2:3], s[4:5]
	global_store_b32 v0, v1, s[0:1] scale_offset
	s_endpgm
	.section	.rodata,"a",@progbits
	.p2align	6, 0x0
	.amdhsa_kernel _Z21subtract_right_kernelIfii10custom_op2Lj256ELj1EEvPKT_PT1_
		.amdhsa_group_segment_fixed_size 2048
		.amdhsa_private_segment_fixed_size 0
		.amdhsa_kernarg_size 16
		.amdhsa_user_sgpr_count 2
		.amdhsa_user_sgpr_dispatch_ptr 0
		.amdhsa_user_sgpr_queue_ptr 0
		.amdhsa_user_sgpr_kernarg_segment_ptr 1
		.amdhsa_user_sgpr_dispatch_id 0
		.amdhsa_user_sgpr_kernarg_preload_length 0
		.amdhsa_user_sgpr_kernarg_preload_offset 0
		.amdhsa_user_sgpr_private_segment_size 0
		.amdhsa_wavefront_size32 1
		.amdhsa_uses_dynamic_stack 0
		.amdhsa_enable_private_segment 0
		.amdhsa_system_sgpr_workgroup_id_x 1
		.amdhsa_system_sgpr_workgroup_id_y 0
		.amdhsa_system_sgpr_workgroup_id_z 0
		.amdhsa_system_sgpr_workgroup_info 0
		.amdhsa_system_vgpr_workitem_id 0
		.amdhsa_next_free_vgpr 4
		.amdhsa_next_free_sgpr 9
		.amdhsa_named_barrier_count 0
		.amdhsa_reserve_vcc 1
		.amdhsa_float_round_mode_32 0
		.amdhsa_float_round_mode_16_64 0
		.amdhsa_float_denorm_mode_32 3
		.amdhsa_float_denorm_mode_16_64 3
		.amdhsa_fp16_overflow 0
		.amdhsa_memory_ordered 1
		.amdhsa_forward_progress 1
		.amdhsa_inst_pref_size 3
		.amdhsa_round_robin_scheduling 0
		.amdhsa_exception_fp_ieee_invalid_op 0
		.amdhsa_exception_fp_denorm_src 0
		.amdhsa_exception_fp_ieee_div_zero 0
		.amdhsa_exception_fp_ieee_overflow 0
		.amdhsa_exception_fp_ieee_underflow 0
		.amdhsa_exception_fp_ieee_inexact 0
		.amdhsa_exception_int_div_zero 0
	.end_amdhsa_kernel
	.section	.text._Z21subtract_right_kernelIfii10custom_op2Lj256ELj1EEvPKT_PT1_,"axG",@progbits,_Z21subtract_right_kernelIfii10custom_op2Lj256ELj1EEvPKT_PT1_,comdat
.Lfunc_end123:
	.size	_Z21subtract_right_kernelIfii10custom_op2Lj256ELj1EEvPKT_PT1_, .Lfunc_end123-_Z21subtract_right_kernelIfii10custom_op2Lj256ELj1EEvPKT_PT1_
                                        ; -- End function
	.set _Z21subtract_right_kernelIfii10custom_op2Lj256ELj1EEvPKT_PT1_.num_vgpr, 4
	.set _Z21subtract_right_kernelIfii10custom_op2Lj256ELj1EEvPKT_PT1_.num_agpr, 0
	.set _Z21subtract_right_kernelIfii10custom_op2Lj256ELj1EEvPKT_PT1_.numbered_sgpr, 9
	.set _Z21subtract_right_kernelIfii10custom_op2Lj256ELj1EEvPKT_PT1_.num_named_barrier, 0
	.set _Z21subtract_right_kernelIfii10custom_op2Lj256ELj1EEvPKT_PT1_.private_seg_size, 0
	.set _Z21subtract_right_kernelIfii10custom_op2Lj256ELj1EEvPKT_PT1_.uses_vcc, 1
	.set _Z21subtract_right_kernelIfii10custom_op2Lj256ELj1EEvPKT_PT1_.uses_flat_scratch, 0
	.set _Z21subtract_right_kernelIfii10custom_op2Lj256ELj1EEvPKT_PT1_.has_dyn_sized_stack, 0
	.set _Z21subtract_right_kernelIfii10custom_op2Lj256ELj1EEvPKT_PT1_.has_recursion, 0
	.set _Z21subtract_right_kernelIfii10custom_op2Lj256ELj1EEvPKT_PT1_.has_indirect_call, 0
	.section	.AMDGPU.csdata,"",@progbits
; Kernel info:
; codeLenInByte = 312
; TotalNumSgprs: 11
; NumVgprs: 4
; ScratchSize: 0
; MemoryBound: 0
; FloatMode: 240
; IeeeMode: 1
; LDSByteSize: 2048 bytes/workgroup (compile time only)
; SGPRBlocks: 0
; VGPRBlocks: 0
; NumSGPRsForWavesPerEU: 11
; NumVGPRsForWavesPerEU: 4
; NamedBarCnt: 0
; Occupancy: 16
; WaveLimiterHint : 0
; COMPUTE_PGM_RSRC2:SCRATCH_EN: 0
; COMPUTE_PGM_RSRC2:USER_SGPR: 2
; COMPUTE_PGM_RSRC2:TRAP_HANDLER: 0
; COMPUTE_PGM_RSRC2:TGID_X_EN: 1
; COMPUTE_PGM_RSRC2:TGID_Y_EN: 0
; COMPUTE_PGM_RSRC2:TGID_Z_EN: 0
; COMPUTE_PGM_RSRC2:TIDIG_COMP_CNT: 0
	.section	.text._Z21subtract_right_kernelIibi10custom_op1Lj128ELj1EEvPKT_PT1_,"axG",@progbits,_Z21subtract_right_kernelIibi10custom_op1Lj128ELj1EEvPKT_PT1_,comdat
	.protected	_Z21subtract_right_kernelIibi10custom_op1Lj128ELj1EEvPKT_PT1_ ; -- Begin function _Z21subtract_right_kernelIibi10custom_op1Lj128ELj1EEvPKT_PT1_
	.globl	_Z21subtract_right_kernelIibi10custom_op1Lj128ELj1EEvPKT_PT1_
	.p2align	8
	.type	_Z21subtract_right_kernelIibi10custom_op1Lj128ELj1EEvPKT_PT1_,@function
_Z21subtract_right_kernelIibi10custom_op1Lj128ELj1EEvPKT_PT1_: ; @_Z21subtract_right_kernelIibi10custom_op1Lj128ELj1EEvPKT_PT1_
; %bb.0:
	s_load_b128 s[0:3], s[0:1], 0x0
	s_bfe_u32 s4, ttmp6, 0x4000c
	s_and_b32 s5, ttmp6, 15
	s_add_co_i32 s4, s4, 1
	s_getreg_b32 s6, hwreg(HW_REG_IB_STS2, 6, 4)
	s_mul_i32 s4, ttmp9, s4
	s_mov_b32 s7, 0
	s_add_co_i32 s5, s5, s4
	s_cmp_eq_u32 s6, 0
	v_lshlrev_b32_e32 v2, 2, v0
	s_cselect_b32 s10, ttmp9, s5
	s_delay_alu instid0(SALU_CYCLE_1) | instskip(NEXT) | instid1(SALU_CYCLE_1)
	s_lshl_b32 s6, s10, 7
	s_lshl_b64 s[4:5], s[6:7], 2
	s_bitcmp1_b32 s10, 0
	s_mov_b32 s6, -1
	s_wait_kmcnt 0x0
	s_add_nc_u64 s[8:9], s[0:1], s[4:5]
	s_cselect_b32 s0, -1, 0
	global_load_b32 v1, v0, s[8:9] scale_offset
	s_and_b32 vcc_lo, exec_lo, s0
	v_cmp_ne_u32_e64 s0, 0x7f, v0
	s_mov_b32 s1, 0
	s_cbranch_vccnz .LBB124_5
; %bb.1:
	s_and_not1_b32 vcc_lo, exec_lo, s6
	s_cbranch_vccz .LBB124_6
.LBB124_2:
	v_mov_b32_e32 v3, s7
	s_wait_xcnt 0x0
	s_and_saveexec_b32 s0, s1
.LBB124_3:
	ds_load_b32 v3, v2 offset:516
.LBB124_4:
	s_or_b32 exec_lo, exec_lo, s0
	s_wait_loadcnt_dscnt 0x0
	v_cmp_ne_u32_e32 vcc_lo, v1, v3
	s_add_nc_u64 s[0:1], s[2:3], s[4:5]
	v_cndmask_b32_e64 v1, 0, 1, vcc_lo
	global_store_b32 v0, v1, s[0:1] scale_offset
	s_endpgm
.LBB124_5:
	s_wait_loadcnt 0x0
	ds_store_b32 v2, v1 offset:512
	s_wait_dscnt 0x0
	s_barrier_signal -1
	s_barrier_wait -1
	s_and_b32 s1, s0, exec_lo
	s_cbranch_execnz .LBB124_2
.LBB124_6:
	s_load_b32 s7, s[8:9], 0x200
	v_cmp_ne_u32_e32 vcc_lo, 0x7f, v0
	s_and_not1_b32 s0, s1, exec_lo
	s_wait_loadcnt 0x0
	ds_store_b32 v2, v1 offset:512
	s_wait_dscnt 0x0
	s_barrier_signal -1
	s_and_b32 s1, vcc_lo, exec_lo
	s_barrier_wait -1
	s_or_b32 s1, s0, s1
	s_wait_kmcnt 0x0
	v_mov_b32_e32 v3, s7
	s_and_saveexec_b32 s0, s1
	s_cbranch_execnz .LBB124_3
	s_branch .LBB124_4
	.section	.rodata,"a",@progbits
	.p2align	6, 0x0
	.amdhsa_kernel _Z21subtract_right_kernelIibi10custom_op1Lj128ELj1EEvPKT_PT1_
		.amdhsa_group_segment_fixed_size 1024
		.amdhsa_private_segment_fixed_size 0
		.amdhsa_kernarg_size 16
		.amdhsa_user_sgpr_count 2
		.amdhsa_user_sgpr_dispatch_ptr 0
		.amdhsa_user_sgpr_queue_ptr 0
		.amdhsa_user_sgpr_kernarg_segment_ptr 1
		.amdhsa_user_sgpr_dispatch_id 0
		.amdhsa_user_sgpr_kernarg_preload_length 0
		.amdhsa_user_sgpr_kernarg_preload_offset 0
		.amdhsa_user_sgpr_private_segment_size 0
		.amdhsa_wavefront_size32 1
		.amdhsa_uses_dynamic_stack 0
		.amdhsa_enable_private_segment 0
		.amdhsa_system_sgpr_workgroup_id_x 1
		.amdhsa_system_sgpr_workgroup_id_y 0
		.amdhsa_system_sgpr_workgroup_id_z 0
		.amdhsa_system_sgpr_workgroup_info 0
		.amdhsa_system_vgpr_workitem_id 0
		.amdhsa_next_free_vgpr 4
		.amdhsa_next_free_sgpr 11
		.amdhsa_named_barrier_count 0
		.amdhsa_reserve_vcc 1
		.amdhsa_float_round_mode_32 0
		.amdhsa_float_round_mode_16_64 0
		.amdhsa_float_denorm_mode_32 3
		.amdhsa_float_denorm_mode_16_64 3
		.amdhsa_fp16_overflow 0
		.amdhsa_memory_ordered 1
		.amdhsa_forward_progress 1
		.amdhsa_inst_pref_size 3
		.amdhsa_round_robin_scheduling 0
		.amdhsa_exception_fp_ieee_invalid_op 0
		.amdhsa_exception_fp_denorm_src 0
		.amdhsa_exception_fp_ieee_div_zero 0
		.amdhsa_exception_fp_ieee_overflow 0
		.amdhsa_exception_fp_ieee_underflow 0
		.amdhsa_exception_fp_ieee_inexact 0
		.amdhsa_exception_int_div_zero 0
	.end_amdhsa_kernel
	.section	.text._Z21subtract_right_kernelIibi10custom_op1Lj128ELj1EEvPKT_PT1_,"axG",@progbits,_Z21subtract_right_kernelIibi10custom_op1Lj128ELj1EEvPKT_PT1_,comdat
.Lfunc_end124:
	.size	_Z21subtract_right_kernelIibi10custom_op1Lj128ELj1EEvPKT_PT1_, .Lfunc_end124-_Z21subtract_right_kernelIibi10custom_op1Lj128ELj1EEvPKT_PT1_
                                        ; -- End function
	.set _Z21subtract_right_kernelIibi10custom_op1Lj128ELj1EEvPKT_PT1_.num_vgpr, 4
	.set _Z21subtract_right_kernelIibi10custom_op1Lj128ELj1EEvPKT_PT1_.num_agpr, 0
	.set _Z21subtract_right_kernelIibi10custom_op1Lj128ELj1EEvPKT_PT1_.numbered_sgpr, 11
	.set _Z21subtract_right_kernelIibi10custom_op1Lj128ELj1EEvPKT_PT1_.num_named_barrier, 0
	.set _Z21subtract_right_kernelIibi10custom_op1Lj128ELj1EEvPKT_PT1_.private_seg_size, 0
	.set _Z21subtract_right_kernelIibi10custom_op1Lj128ELj1EEvPKT_PT1_.uses_vcc, 1
	.set _Z21subtract_right_kernelIibi10custom_op1Lj128ELj1EEvPKT_PT1_.uses_flat_scratch, 0
	.set _Z21subtract_right_kernelIibi10custom_op1Lj128ELj1EEvPKT_PT1_.has_dyn_sized_stack, 0
	.set _Z21subtract_right_kernelIibi10custom_op1Lj128ELj1EEvPKT_PT1_.has_recursion, 0
	.set _Z21subtract_right_kernelIibi10custom_op1Lj128ELj1EEvPKT_PT1_.has_indirect_call, 0
	.section	.AMDGPU.csdata,"",@progbits
; Kernel info:
; codeLenInByte = 292
; TotalNumSgprs: 13
; NumVgprs: 4
; ScratchSize: 0
; MemoryBound: 0
; FloatMode: 240
; IeeeMode: 1
; LDSByteSize: 1024 bytes/workgroup (compile time only)
; SGPRBlocks: 0
; VGPRBlocks: 0
; NumSGPRsForWavesPerEU: 13
; NumVGPRsForWavesPerEU: 4
; NamedBarCnt: 0
; Occupancy: 16
; WaveLimiterHint : 0
; COMPUTE_PGM_RSRC2:SCRATCH_EN: 0
; COMPUTE_PGM_RSRC2:USER_SGPR: 2
; COMPUTE_PGM_RSRC2:TRAP_HANDLER: 0
; COMPUTE_PGM_RSRC2:TGID_X_EN: 1
; COMPUTE_PGM_RSRC2:TGID_Y_EN: 0
; COMPUTE_PGM_RSRC2:TGID_Z_EN: 0
; COMPUTE_PGM_RSRC2:TIDIG_COMP_CNT: 0
	.section	.text._Z21subtract_right_kernelIjiiN6hipcub3SumELj64ELj1EEvPKT_PT1_,"axG",@progbits,_Z21subtract_right_kernelIjiiN6hipcub3SumELj64ELj1EEvPKT_PT1_,comdat
	.protected	_Z21subtract_right_kernelIjiiN6hipcub3SumELj64ELj1EEvPKT_PT1_ ; -- Begin function _Z21subtract_right_kernelIjiiN6hipcub3SumELj64ELj1EEvPKT_PT1_
	.globl	_Z21subtract_right_kernelIjiiN6hipcub3SumELj64ELj1EEvPKT_PT1_
	.p2align	8
	.type	_Z21subtract_right_kernelIjiiN6hipcub3SumELj64ELj1EEvPKT_PT1_,@function
_Z21subtract_right_kernelIjiiN6hipcub3SumELj64ELj1EEvPKT_PT1_: ; @_Z21subtract_right_kernelIjiiN6hipcub3SumELj64ELj1EEvPKT_PT1_
; %bb.0:
	s_load_b128 s[0:3], s[0:1], 0x0
	s_bfe_u32 s4, ttmp6, 0x4000c
	s_and_b32 s5, ttmp6, 15
	s_add_co_i32 s4, s4, 1
	s_getreg_b32 s6, hwreg(HW_REG_IB_STS2, 6, 4)
	s_mul_i32 s4, ttmp9, s4
	v_lshlrev_b32_e32 v2, 2, v0
	s_add_co_i32 s5, s5, s4
	s_cmp_eq_u32 s6, 0
	s_cselect_b32 s8, ttmp9, s5
	s_mov_b32 s5, 0
	s_lshl_b32 s4, s8, 6
	s_delay_alu instid0(SALU_CYCLE_1)
	s_lshl_b64 s[4:5], s[4:5], 2
	s_bitcmp1_b32 s8, 0
	s_wait_kmcnt 0x0
	s_add_nc_u64 s[6:7], s[0:1], s[4:5]
	s_cselect_b32 s0, -1, 0
	global_load_b32 v1, v0, s[6:7] scale_offset
	s_and_b32 vcc_lo, exec_lo, s0
	v_cmp_ne_u32_e64 s0, 63, v0
	s_cbranch_vccz .LBB125_5
; %bb.1:
	s_wait_loadcnt 0x0
	v_mov_b32_e32 v3, v1
	ds_store_b32 v2, v1 offset:256
	s_wait_dscnt 0x0
	s_barrier_signal -1
	s_barrier_wait -1
	s_and_saveexec_b32 s1, s0
	s_cbranch_execz .LBB125_3
; %bb.2:
	ds_load_b32 v3, v2 offset:260
	s_wait_dscnt 0x0
	v_add_nc_u32_e32 v3, v3, v1
.LBB125_3:
	s_or_b32 exec_lo, exec_lo, s1
	s_cbranch_execz .LBB125_6
; %bb.4:
	s_add_nc_u64 s[0:1], s[2:3], s[4:5]
	global_store_b32 v0, v3, s[0:1] scale_offset
	s_endpgm
.LBB125_5:
                                        ; implicit-def: $vgpr3
.LBB125_6:
	s_load_b32 s0, s[6:7], 0x100
	s_wait_loadcnt 0x0
	ds_store_b32 v2, v1 offset:256
	s_wait_dscnt 0x0
	s_barrier_signal -1
	s_barrier_wait -1
	s_wait_kmcnt 0x0
	v_mov_b32_e32 v3, s0
	s_mov_b32 s0, exec_lo
	v_cmpx_ne_u32_e32 63, v0
; %bb.7:
	ds_load_b32 v3, v2 offset:260
; %bb.8:
	s_or_b32 exec_lo, exec_lo, s0
	s_wait_dscnt 0x0
	v_add_nc_u32_e32 v3, v3, v1
	s_add_nc_u64 s[0:1], s[2:3], s[4:5]
	global_store_b32 v0, v3, s[0:1] scale_offset
	s_endpgm
	.section	.rodata,"a",@progbits
	.p2align	6, 0x0
	.amdhsa_kernel _Z21subtract_right_kernelIjiiN6hipcub3SumELj64ELj1EEvPKT_PT1_
		.amdhsa_group_segment_fixed_size 512
		.amdhsa_private_segment_fixed_size 0
		.amdhsa_kernarg_size 16
		.amdhsa_user_sgpr_count 2
		.amdhsa_user_sgpr_dispatch_ptr 0
		.amdhsa_user_sgpr_queue_ptr 0
		.amdhsa_user_sgpr_kernarg_segment_ptr 1
		.amdhsa_user_sgpr_dispatch_id 0
		.amdhsa_user_sgpr_kernarg_preload_length 0
		.amdhsa_user_sgpr_kernarg_preload_offset 0
		.amdhsa_user_sgpr_private_segment_size 0
		.amdhsa_wavefront_size32 1
		.amdhsa_uses_dynamic_stack 0
		.amdhsa_enable_private_segment 0
		.amdhsa_system_sgpr_workgroup_id_x 1
		.amdhsa_system_sgpr_workgroup_id_y 0
		.amdhsa_system_sgpr_workgroup_id_z 0
		.amdhsa_system_sgpr_workgroup_info 0
		.amdhsa_system_vgpr_workitem_id 0
		.amdhsa_next_free_vgpr 4
		.amdhsa_next_free_sgpr 9
		.amdhsa_named_barrier_count 0
		.amdhsa_reserve_vcc 1
		.amdhsa_float_round_mode_32 0
		.amdhsa_float_round_mode_16_64 0
		.amdhsa_float_denorm_mode_32 3
		.amdhsa_float_denorm_mode_16_64 3
		.amdhsa_fp16_overflow 0
		.amdhsa_memory_ordered 1
		.amdhsa_forward_progress 1
		.amdhsa_inst_pref_size 3
		.amdhsa_round_robin_scheduling 0
		.amdhsa_exception_fp_ieee_invalid_op 0
		.amdhsa_exception_fp_denorm_src 0
		.amdhsa_exception_fp_ieee_div_zero 0
		.amdhsa_exception_fp_ieee_overflow 0
		.amdhsa_exception_fp_ieee_underflow 0
		.amdhsa_exception_fp_ieee_inexact 0
		.amdhsa_exception_int_div_zero 0
	.end_amdhsa_kernel
	.section	.text._Z21subtract_right_kernelIjiiN6hipcub3SumELj64ELj1EEvPKT_PT1_,"axG",@progbits,_Z21subtract_right_kernelIjiiN6hipcub3SumELj64ELj1EEvPKT_PT1_,comdat
.Lfunc_end125:
	.size	_Z21subtract_right_kernelIjiiN6hipcub3SumELj64ELj1EEvPKT_PT1_, .Lfunc_end125-_Z21subtract_right_kernelIjiiN6hipcub3SumELj64ELj1EEvPKT_PT1_
                                        ; -- End function
	.set _Z21subtract_right_kernelIjiiN6hipcub3SumELj64ELj1EEvPKT_PT1_.num_vgpr, 4
	.set _Z21subtract_right_kernelIjiiN6hipcub3SumELj64ELj1EEvPKT_PT1_.num_agpr, 0
	.set _Z21subtract_right_kernelIjiiN6hipcub3SumELj64ELj1EEvPKT_PT1_.numbered_sgpr, 9
	.set _Z21subtract_right_kernelIjiiN6hipcub3SumELj64ELj1EEvPKT_PT1_.num_named_barrier, 0
	.set _Z21subtract_right_kernelIjiiN6hipcub3SumELj64ELj1EEvPKT_PT1_.private_seg_size, 0
	.set _Z21subtract_right_kernelIjiiN6hipcub3SumELj64ELj1EEvPKT_PT1_.uses_vcc, 1
	.set _Z21subtract_right_kernelIjiiN6hipcub3SumELj64ELj1EEvPKT_PT1_.uses_flat_scratch, 0
	.set _Z21subtract_right_kernelIjiiN6hipcub3SumELj64ELj1EEvPKT_PT1_.has_dyn_sized_stack, 0
	.set _Z21subtract_right_kernelIjiiN6hipcub3SumELj64ELj1EEvPKT_PT1_.has_recursion, 0
	.set _Z21subtract_right_kernelIjiiN6hipcub3SumELj64ELj1EEvPKT_PT1_.has_indirect_call, 0
	.section	.AMDGPU.csdata,"",@progbits
; Kernel info:
; codeLenInByte = 276
; TotalNumSgprs: 11
; NumVgprs: 4
; ScratchSize: 0
; MemoryBound: 0
; FloatMode: 240
; IeeeMode: 1
; LDSByteSize: 512 bytes/workgroup (compile time only)
; SGPRBlocks: 0
; VGPRBlocks: 0
; NumSGPRsForWavesPerEU: 11
; NumVGPRsForWavesPerEU: 4
; NamedBarCnt: 0
; Occupancy: 16
; WaveLimiterHint : 0
; COMPUTE_PGM_RSRC2:SCRATCH_EN: 0
; COMPUTE_PGM_RSRC2:USER_SGPR: 2
; COMPUTE_PGM_RSRC2:TRAP_HANDLER: 0
; COMPUTE_PGM_RSRC2:TGID_X_EN: 1
; COMPUTE_PGM_RSRC2:TGID_Y_EN: 0
; COMPUTE_PGM_RSRC2:TGID_Z_EN: 0
; COMPUTE_PGM_RSRC2:TIDIG_COMP_CNT: 0
	.section	.text._Z34subtract_right_partial_tile_kernelIsbi10custom_op2Lj234ELj9EEvPKT_PiPT1_,"axG",@progbits,_Z34subtract_right_partial_tile_kernelIsbi10custom_op2Lj234ELj9EEvPKT_PiPT1_,comdat
	.protected	_Z34subtract_right_partial_tile_kernelIsbi10custom_op2Lj234ELj9EEvPKT_PiPT1_ ; -- Begin function _Z34subtract_right_partial_tile_kernelIsbi10custom_op2Lj234ELj9EEvPKT_PiPT1_
	.globl	_Z34subtract_right_partial_tile_kernelIsbi10custom_op2Lj234ELj9EEvPKT_PiPT1_
	.p2align	8
	.type	_Z34subtract_right_partial_tile_kernelIsbi10custom_op2Lj234ELj9EEvPKT_PiPT1_,@function
_Z34subtract_right_partial_tile_kernelIsbi10custom_op2Lj234ELj9EEvPKT_PiPT1_: ; @_Z34subtract_right_partial_tile_kernelIsbi10custom_op2Lj234ELj9EEvPKT_PiPT1_
; %bb.0:
	s_load_b128 s[4:7], s[0:1], 0x0
	s_bfe_u32 s2, ttmp6, 0x4000c
	s_and_b32 s3, ttmp6, 15
	s_add_co_i32 s2, s2, 1
	s_getreg_b32 s8, hwreg(HW_REG_IB_STS2, 6, 4)
	s_mul_i32 s2, ttmp9, s2
	v_mov_b32_e32 v5, 0
	s_add_co_i32 s2, s3, s2
	s_cmp_eq_u32 s8, 0
	s_mov_b32 s3, 0
	s_cselect_b32 s10, ttmp9, s2
	v_mul_u32_u24_e32 v4, 9, v0
	s_mul_i32 s2, s10, 0x83a
	s_wait_xcnt 0x0
	s_load_b64 s[0:1], s[0:1], 0x10
	s_lshl_b64 s[8:9], s[2:3], 1
	v_dual_add_nc_u32 v12, 5, v4 :: v_dual_add_nc_u32 v13, 6, v4
	v_dual_add_nc_u32 v2, 3, v4 :: v_dual_add_nc_u32 v14, 7, v4
	v_add_nc_u32_e32 v15, 8, v4
	s_wait_kmcnt 0x0
	s_add_nc_u64 s[4:5], s[4:5], s[8:9]
	v_add_nc_u32_e32 v1, 2, v4
	v_lshl_add_u64 v[6:7], v[4:5], 1, s[4:5]
	s_clause 0x1
	global_load_b128 v[8:11], v[6:7], off
	global_load_u16 v3, v4, s[4:5] offset:16 scale_offset
	s_wait_xcnt 0x0
	s_load_b32 s4, s[6:7], s10 offset:0x0 scale_offset
	v_lshlrev_b32_e32 v6, 1, v0
	v_dual_add_nc_u32 v0, 1, v4 :: v_dual_add_nc_u32 v7, 4, v4
	s_wait_loadcnt 0x1
	v_cmp_ne_u16_e32 vcc_lo, 0, v8
	v_dual_lshrrev_b32 v18, 16, v10 :: v_dual_lshrrev_b32 v19, 16, v11
	v_lshlrev_b16 v25, 1, v11
	v_dual_lshrrev_b32 v16, 16, v8 :: v_dual_lshrrev_b32 v17, 16, v9
	v_cndmask_b32_e64 v20, 0, 1, vcc_lo
	v_cmp_ne_u16_e32 vcc_lo, 0, v9
	v_lshlrev_b16 v29, 1, v18
	v_lshlrev_b16 v23, 1, v10
	;; [unrolled: 1-line block ×4, first 2 shown]
	v_cndmask_b32_e64 v22, 0, 1, vcc_lo
	v_cmp_ne_u16_e32 vcc_lo, 0, v10
	s_wait_loadcnt 0x0
	v_lshlrev_b16 v27, 1, v3
	ds_store_b16 v6, v8 offset:468
	s_wait_dscnt 0x0
	s_barrier_signal -1
	v_cndmask_b32_e64 v24, 0, 1, vcc_lo
	v_cmp_ne_u16_e32 vcc_lo, 0, v11
	s_barrier_wait -1
	v_cndmask_b32_e64 v26, 0, 1, vcc_lo
	v_cmp_ne_u16_e32 vcc_lo, 0, v18
	v_cndmask_b32_e64 v30, 0, 1, vcc_lo
	v_cmp_ne_u16_e32 vcc_lo, v25, v18
	;; [unrolled: 2-line block ×3, first 2 shown]
	s_delay_alu instid0(VALU_DEP_4)
	v_lshlrev_b16 v29, 8, v30
	v_cndmask_b32_e64 v10, 0, 1, vcc_lo
	v_cmp_ne_u16_e32 vcc_lo, 0, v16
	v_cndmask_b32_e64 v25, 0, 1, vcc_lo
	s_wait_kmcnt 0x0
	v_cmp_gt_u32_e32 vcc_lo, s4, v12
	v_lshlrev_b16 v12, 8, v18
	v_lshlrev_b16 v18, 1, v17
	v_cndmask_b32_e32 v10, v24, v10, vcc_lo
	v_cmp_ne_u16_e32 vcc_lo, v21, v16
	s_delay_alu instid0(VALU_DEP_2) | instskip(SKIP_3) | instid1(VALU_DEP_4)
	v_bitop3_b16 v21, v10, v29, 0xff bitop3:0xec
	v_cndmask_b32_e64 v16, 0, 1, vcc_lo
	v_cmp_ne_u16_e32 vcc_lo, 0, v17
	v_bitop3_b16 v10, v10, v12, 0xff bitop3:0xec
	v_and_b32_e32 v21, 0xffff, v21
	s_delay_alu instid0(VALU_DEP_4) | instskip(SKIP_4) | instid1(VALU_DEP_4)
	v_lshlrev_b16 v16, 8, v16
	v_cndmask_b32_e64 v12, 0, 1, vcc_lo
	v_cmp_ne_u16_e32 vcc_lo, v23, v17
	v_and_b32_e32 v10, 0xffff, v10
	v_lshlrev_b16 v23, 1, v19
	v_lshlrev_b16 v12, 8, v12
	v_cndmask_b32_e64 v17, 0, 1, vcc_lo
	v_cmp_ne_u16_e32 vcc_lo, 0, v19
	s_delay_alu instid0(VALU_DEP_2) | instskip(SKIP_4) | instid1(VALU_DEP_2)
	v_lshlrev_b16 v17, 8, v17
	v_cndmask_b32_e64 v24, 0, 1, vcc_lo
	v_cmp_gt_u32_e32 vcc_lo, s4, v13
	v_cndmask_b32_e32 v10, v21, v10, vcc_lo
	v_cmp_ne_u16_e32 vcc_lo, v27, v19
	v_lshrrev_b32_e32 v19, 16, v10
	v_cndmask_b32_e64 v13, 0, 1, vcc_lo
	v_cmp_ne_u16_e32 vcc_lo, v23, v11
	v_lshlrev_b16 v23, 8, v25
	s_delay_alu instid0(VALU_DEP_3) | instskip(SKIP_2) | instid1(VALU_DEP_2)
	v_lshlrev_b16 v13, 8, v13
	v_cndmask_b32_e64 v11, 0, 1, vcc_lo
	v_cmp_ne_u16_e32 vcc_lo, v28, v8
	v_bitop3_b16 v11, v11, v19, 0xff00 bitop3:0xf8
	v_cndmask_b32_e64 v21, 0, 1, vcc_lo
	v_bitop3_b16 v19, v26, v19, 0xff00 bitop3:0xf8
	v_cmp_ne_u16_e32 vcc_lo, v18, v9
	s_delay_alu instid0(VALU_DEP_4) | instskip(SKIP_1) | instid1(VALU_DEP_4)
	v_lshlrev_b32_e32 v11, 16, v11
	v_and_b32_e32 v10, 0xffff, v10
	v_lshlrev_b32_e32 v18, 16, v19
	v_cndmask_b32_e64 v9, 0, 1, vcc_lo
	v_cmp_gt_u32_e32 vcc_lo, s4, v0
	v_lshlrev_b16 v19, 8, v24
	s_delay_alu instid0(VALU_DEP_4) | instskip(SKIP_4) | instid1(VALU_DEP_4)
	v_or_b32_e32 v18, v10, v18
	v_dual_cndmask_b32 v0, v20, v21, vcc_lo :: v_dual_bitop2_b32 v10, v10, v11 bitop3:0x54
	v_cmp_gt_u32_e32 vcc_lo, s4, v2
	v_cndmask_b32_e32 v2, v22, v9, vcc_lo
	v_cmp_gt_u32_e32 vcc_lo, s4, v14
	v_dual_cndmask_b32 v9, v18, v10, vcc_lo :: v_dual_bitop2_b32 v10, v0, v23 bitop3:0x54
	v_or_b32_e32 v0, v0, v16
	s_delay_alu instid0(VALU_DEP_4) | instskip(SKIP_1) | instid1(VALU_DEP_4)
	v_or_b32_e32 v11, v2, v12
	v_cmp_gt_u32_e32 vcc_lo, s4, v7
	v_lshrrev_b32_e32 v12, 16, v9
	v_and_b32_e32 v10, 0xffff, v10
	v_and_b32_e32 v0, 0xffff, v0
	s_delay_alu instid0(VALU_DEP_3) | instskip(NEXT) | instid1(VALU_DEP_1)
	v_bitop3_b16 v7, v12, v19, 0xff bitop3:0xec
	v_dual_lshlrev_b32 v7, 16, v7 :: v_dual_bitop2_b32 v2, v2, v17 bitop3:0x54
	s_delay_alu instid0(VALU_DEP_1) | instskip(SKIP_3) | instid1(VALU_DEP_3)
	v_cndmask_b32_e32 v2, v11, v2, vcc_lo
	v_bitop3_b16 v11, v12, v13, 0xff bitop3:0xec
	v_cmp_gt_u32_e32 vcc_lo, s4, v1
	v_and_b32_e32 v1, 0xffff, v9
	v_dual_cndmask_b32 v0, v10, v0 :: v_dual_lshlrev_b32 v9, 16, v11
	v_cmp_ne_u16_e32 vcc_lo, 0, v3
	s_delay_alu instid0(VALU_DEP_3) | instskip(NEXT) | instid1(VALU_DEP_3)
	v_dual_add_nc_u32 v10, 9, v4 :: v_dual_bitop2_b32 v7, v1, v7 bitop3:0x54
	v_or_b32_e32 v1, v1, v9
	s_delay_alu instid0(VALU_DEP_4) | instskip(SKIP_2) | instid1(VALU_DEP_3)
	v_lshl_or_b32 v0, v2, 16, v0
	v_cndmask_b32_e64 v2, 0, 1, vcc_lo
	v_cmp_gt_u32_e32 vcc_lo, s4, v15
	v_perm_b32 v0, v0, v0, 0x3020104
	v_cndmask_b32_e32 v1, v7, v1, vcc_lo
	v_cmp_gt_u32_e32 vcc_lo, s4, v10
	s_and_saveexec_b32 s4, vcc_lo
	s_cbranch_execz .LBB126_2
; %bb.1:
	ds_load_u16 v2, v6 offset:470
	s_wait_dscnt 0x0
	v_lshlrev_b16 v2, 1, v2
	s_delay_alu instid0(VALU_DEP_1)
	v_cmp_ne_u16_e32 vcc_lo, v2, v3
	v_cndmask_b32_e64 v2, 0, 1, vcc_lo
.LBB126_2:
	s_or_b32 exec_lo, exec_lo, s4
	s_lshl_b64 s[2:3], s[2:3], 2
	v_and_b32_e32 v6, 0xff, v0
	s_add_nc_u64 s[0:1], s[0:1], s[2:3]
	v_bfe_u32 v7, v0, 8, 8
	v_lshl_add_u64 v[4:5], v[4:5], 2, s[0:1]
	v_dual_lshrrev_b32 v9, 24, v0 :: v_dual_lshrrev_b32 v13, 24, v1
	v_bfe_u32 v8, v0, 16, 8
	v_and_b32_e32 v10, 0xff, v1
	v_bfe_u32 v11, v1, 8, 8
	v_bfe_u32 v12, v1, 16, 8
	v_and_b32_e32 v0, 0xff, v2
	s_clause 0x2
	global_store_b128 v[4:5], v[6:9], off
	global_store_b128 v[4:5], v[10:13], off offset:16
	global_store_b32 v[4:5], v0, off offset:32
	s_endpgm
	.section	.rodata,"a",@progbits
	.p2align	6, 0x0
	.amdhsa_kernel _Z34subtract_right_partial_tile_kernelIsbi10custom_op2Lj234ELj9EEvPKT_PiPT1_
		.amdhsa_group_segment_fixed_size 936
		.amdhsa_private_segment_fixed_size 0
		.amdhsa_kernarg_size 24
		.amdhsa_user_sgpr_count 2
		.amdhsa_user_sgpr_dispatch_ptr 0
		.amdhsa_user_sgpr_queue_ptr 0
		.amdhsa_user_sgpr_kernarg_segment_ptr 1
		.amdhsa_user_sgpr_dispatch_id 0
		.amdhsa_user_sgpr_kernarg_preload_length 0
		.amdhsa_user_sgpr_kernarg_preload_offset 0
		.amdhsa_user_sgpr_private_segment_size 0
		.amdhsa_wavefront_size32 1
		.amdhsa_uses_dynamic_stack 0
		.amdhsa_enable_private_segment 0
		.amdhsa_system_sgpr_workgroup_id_x 1
		.amdhsa_system_sgpr_workgroup_id_y 0
		.amdhsa_system_sgpr_workgroup_id_z 0
		.amdhsa_system_sgpr_workgroup_info 0
		.amdhsa_system_vgpr_workitem_id 0
		.amdhsa_next_free_vgpr 31
		.amdhsa_next_free_sgpr 11
		.amdhsa_named_barrier_count 0
		.amdhsa_reserve_vcc 1
		.amdhsa_float_round_mode_32 0
		.amdhsa_float_round_mode_16_64 0
		.amdhsa_float_denorm_mode_32 3
		.amdhsa_float_denorm_mode_16_64 3
		.amdhsa_fp16_overflow 0
		.amdhsa_memory_ordered 1
		.amdhsa_forward_progress 1
		.amdhsa_inst_pref_size 9
		.amdhsa_round_robin_scheduling 0
		.amdhsa_exception_fp_ieee_invalid_op 0
		.amdhsa_exception_fp_denorm_src 0
		.amdhsa_exception_fp_ieee_div_zero 0
		.amdhsa_exception_fp_ieee_overflow 0
		.amdhsa_exception_fp_ieee_underflow 0
		.amdhsa_exception_fp_ieee_inexact 0
		.amdhsa_exception_int_div_zero 0
	.end_amdhsa_kernel
	.section	.text._Z34subtract_right_partial_tile_kernelIsbi10custom_op2Lj234ELj9EEvPKT_PiPT1_,"axG",@progbits,_Z34subtract_right_partial_tile_kernelIsbi10custom_op2Lj234ELj9EEvPKT_PiPT1_,comdat
.Lfunc_end126:
	.size	_Z34subtract_right_partial_tile_kernelIsbi10custom_op2Lj234ELj9EEvPKT_PiPT1_, .Lfunc_end126-_Z34subtract_right_partial_tile_kernelIsbi10custom_op2Lj234ELj9EEvPKT_PiPT1_
                                        ; -- End function
	.set _Z34subtract_right_partial_tile_kernelIsbi10custom_op2Lj234ELj9EEvPKT_PiPT1_.num_vgpr, 31
	.set _Z34subtract_right_partial_tile_kernelIsbi10custom_op2Lj234ELj9EEvPKT_PiPT1_.num_agpr, 0
	.set _Z34subtract_right_partial_tile_kernelIsbi10custom_op2Lj234ELj9EEvPKT_PiPT1_.numbered_sgpr, 11
	.set _Z34subtract_right_partial_tile_kernelIsbi10custom_op2Lj234ELj9EEvPKT_PiPT1_.num_named_barrier, 0
	.set _Z34subtract_right_partial_tile_kernelIsbi10custom_op2Lj234ELj9EEvPKT_PiPT1_.private_seg_size, 0
	.set _Z34subtract_right_partial_tile_kernelIsbi10custom_op2Lj234ELj9EEvPKT_PiPT1_.uses_vcc, 1
	.set _Z34subtract_right_partial_tile_kernelIsbi10custom_op2Lj234ELj9EEvPKT_PiPT1_.uses_flat_scratch, 0
	.set _Z34subtract_right_partial_tile_kernelIsbi10custom_op2Lj234ELj9EEvPKT_PiPT1_.has_dyn_sized_stack, 0
	.set _Z34subtract_right_partial_tile_kernelIsbi10custom_op2Lj234ELj9EEvPKT_PiPT1_.has_recursion, 0
	.set _Z34subtract_right_partial_tile_kernelIsbi10custom_op2Lj234ELj9EEvPKT_PiPT1_.has_indirect_call, 0
	.section	.AMDGPU.csdata,"",@progbits
; Kernel info:
; codeLenInByte = 1080
; TotalNumSgprs: 13
; NumVgprs: 31
; ScratchSize: 0
; MemoryBound: 0
; FloatMode: 240
; IeeeMode: 1
; LDSByteSize: 936 bytes/workgroup (compile time only)
; SGPRBlocks: 0
; VGPRBlocks: 1
; NumSGPRsForWavesPerEU: 13
; NumVGPRsForWavesPerEU: 31
; NamedBarCnt: 0
; Occupancy: 16
; WaveLimiterHint : 0
; COMPUTE_PGM_RSRC2:SCRATCH_EN: 0
; COMPUTE_PGM_RSRC2:USER_SGPR: 2
; COMPUTE_PGM_RSRC2:TRAP_HANDLER: 0
; COMPUTE_PGM_RSRC2:TGID_X_EN: 1
; COMPUTE_PGM_RSRC2:TGID_Y_EN: 0
; COMPUTE_PGM_RSRC2:TGID_Z_EN: 0
; COMPUTE_PGM_RSRC2:TIDIG_COMP_CNT: 0
	.section	.text._Z34subtract_right_partial_tile_kernelItii10custom_op1Lj100ELj3EEvPKT_PiPT1_,"axG",@progbits,_Z34subtract_right_partial_tile_kernelItii10custom_op1Lj100ELj3EEvPKT_PiPT1_,comdat
	.protected	_Z34subtract_right_partial_tile_kernelItii10custom_op1Lj100ELj3EEvPKT_PiPT1_ ; -- Begin function _Z34subtract_right_partial_tile_kernelItii10custom_op1Lj100ELj3EEvPKT_PiPT1_
	.globl	_Z34subtract_right_partial_tile_kernelItii10custom_op1Lj100ELj3EEvPKT_PiPT1_
	.p2align	8
	.type	_Z34subtract_right_partial_tile_kernelItii10custom_op1Lj100ELj3EEvPKT_PiPT1_,@function
_Z34subtract_right_partial_tile_kernelItii10custom_op1Lj100ELj3EEvPKT_PiPT1_: ; @_Z34subtract_right_partial_tile_kernelItii10custom_op1Lj100ELj3EEvPKT_PiPT1_
; %bb.0:
	s_load_b128 s[4:7], s[0:1], 0x0
	s_bfe_u32 s2, ttmp6, 0x4000c
	s_and_b32 s3, ttmp6, 15
	s_add_co_i32 s2, s2, 1
	s_getreg_b32 s8, hwreg(HW_REG_IB_STS2, 6, 4)
	s_mul_i32 s2, ttmp9, s2
	v_mul_u32_u24_e32 v3, 3, v0
	s_add_co_i32 s3, s3, s2
	s_cmp_eq_u32 s8, 0
	v_lshlrev_b32_e32 v5, 1, v0
	s_cselect_b32 s10, ttmp9, s3
	s_mov_b32 s3, 0
	s_mul_i32 s2, s10, 0x12c
	v_lshlrev_b32_e32 v1, 1, v3
	s_lshl_b64 s[8:9], s[2:3], 1
	v_mad_u32_u24 v6, v0, 3, 1
	v_mad_u32_u24 v8, v0, 3, 2
	;; [unrolled: 1-line block ×3, first 2 shown]
	s_wait_xcnt 0x0
	s_load_b64 s[0:1], s[0:1], 0x10
	s_wait_kmcnt 0x0
	s_add_nc_u64 s[4:5], s[4:5], s[8:9]
	s_clause 0x1
	global_load_b32 v2, v1, s[4:5]
	global_load_u16 v4, v3, s[4:5] offset:4 scale_offset
	s_wait_xcnt 0x0
	s_load_b32 s4, s[6:7], s10 offset:0x0 scale_offset
	s_wait_kmcnt 0x0
	v_cmp_gt_u32_e32 vcc_lo, s4, v6
	s_wait_loadcnt 0x1
	v_and_b32_e32 v0, 0xffff, v2
	v_lshrrev_b32_e32 v1, 16, v2
	ds_store_b16 v5, v2 offset:200
	s_wait_loadcnt_dscnt 0x0
	s_barrier_signal -1
	s_barrier_wait -1
	v_sub_nc_u16 v7, v2, v1
	v_and_b32_e32 v2, 0xffff, v4
	s_delay_alu instid0(VALU_DEP_2) | instskip(NEXT) | instid1(VALU_DEP_1)
	v_and_b32_e32 v7, 0xffff, v7
	v_cndmask_b32_e32 v0, v0, v7, vcc_lo
	v_sub_nc_u16 v9, v1, v4
	v_cmp_gt_u32_e32 vcc_lo, s4, v8
	s_delay_alu instid0(VALU_DEP_2) | instskip(NEXT) | instid1(VALU_DEP_1)
	v_and_b32_e32 v9, 0xffff, v9
	v_cndmask_b32_e32 v1, v1, v9, vcc_lo
	v_cmp_gt_u32_e32 vcc_lo, s4, v10
	s_and_saveexec_b32 s4, vcc_lo
	s_cbranch_execz .LBB127_2
; %bb.1:
	ds_load_u16 v2, v5 offset:202
	s_wait_dscnt 0x0
	v_sub_nc_u16 v2, v4, v2
	s_delay_alu instid0(VALU_DEP_1)
	v_and_b32_e32 v2, 0xffff, v2
.LBB127_2:
	s_or_b32 exec_lo, exec_lo, s4
	v_lshlrev_b32_e32 v3, 2, v3
	s_lshl_b64 s[2:3], s[2:3], 2
	s_delay_alu instid0(SALU_CYCLE_1)
	s_add_nc_u64 s[0:1], s[0:1], s[2:3]
	global_store_b96 v3, v[0:2], s[0:1]
	s_endpgm
	.section	.rodata,"a",@progbits
	.p2align	6, 0x0
	.amdhsa_kernel _Z34subtract_right_partial_tile_kernelItii10custom_op1Lj100ELj3EEvPKT_PiPT1_
		.amdhsa_group_segment_fixed_size 400
		.amdhsa_private_segment_fixed_size 0
		.amdhsa_kernarg_size 24
		.amdhsa_user_sgpr_count 2
		.amdhsa_user_sgpr_dispatch_ptr 0
		.amdhsa_user_sgpr_queue_ptr 0
		.amdhsa_user_sgpr_kernarg_segment_ptr 1
		.amdhsa_user_sgpr_dispatch_id 0
		.amdhsa_user_sgpr_kernarg_preload_length 0
		.amdhsa_user_sgpr_kernarg_preload_offset 0
		.amdhsa_user_sgpr_private_segment_size 0
		.amdhsa_wavefront_size32 1
		.amdhsa_uses_dynamic_stack 0
		.amdhsa_enable_private_segment 0
		.amdhsa_system_sgpr_workgroup_id_x 1
		.amdhsa_system_sgpr_workgroup_id_y 0
		.amdhsa_system_sgpr_workgroup_id_z 0
		.amdhsa_system_sgpr_workgroup_info 0
		.amdhsa_system_vgpr_workitem_id 0
		.amdhsa_next_free_vgpr 11
		.amdhsa_next_free_sgpr 11
		.amdhsa_named_barrier_count 0
		.amdhsa_reserve_vcc 1
		.amdhsa_float_round_mode_32 0
		.amdhsa_float_round_mode_16_64 0
		.amdhsa_float_denorm_mode_32 3
		.amdhsa_float_denorm_mode_16_64 3
		.amdhsa_fp16_overflow 0
		.amdhsa_memory_ordered 1
		.amdhsa_forward_progress 1
		.amdhsa_inst_pref_size 3
		.amdhsa_round_robin_scheduling 0
		.amdhsa_exception_fp_ieee_invalid_op 0
		.amdhsa_exception_fp_denorm_src 0
		.amdhsa_exception_fp_ieee_div_zero 0
		.amdhsa_exception_fp_ieee_overflow 0
		.amdhsa_exception_fp_ieee_underflow 0
		.amdhsa_exception_fp_ieee_inexact 0
		.amdhsa_exception_int_div_zero 0
	.end_amdhsa_kernel
	.section	.text._Z34subtract_right_partial_tile_kernelItii10custom_op1Lj100ELj3EEvPKT_PiPT1_,"axG",@progbits,_Z34subtract_right_partial_tile_kernelItii10custom_op1Lj100ELj3EEvPKT_PiPT1_,comdat
.Lfunc_end127:
	.size	_Z34subtract_right_partial_tile_kernelItii10custom_op1Lj100ELj3EEvPKT_PiPT1_, .Lfunc_end127-_Z34subtract_right_partial_tile_kernelItii10custom_op1Lj100ELj3EEvPKT_PiPT1_
                                        ; -- End function
	.set _Z34subtract_right_partial_tile_kernelItii10custom_op1Lj100ELj3EEvPKT_PiPT1_.num_vgpr, 11
	.set _Z34subtract_right_partial_tile_kernelItii10custom_op1Lj100ELj3EEvPKT_PiPT1_.num_agpr, 0
	.set _Z34subtract_right_partial_tile_kernelItii10custom_op1Lj100ELj3EEvPKT_PiPT1_.numbered_sgpr, 11
	.set _Z34subtract_right_partial_tile_kernelItii10custom_op1Lj100ELj3EEvPKT_PiPT1_.num_named_barrier, 0
	.set _Z34subtract_right_partial_tile_kernelItii10custom_op1Lj100ELj3EEvPKT_PiPT1_.private_seg_size, 0
	.set _Z34subtract_right_partial_tile_kernelItii10custom_op1Lj100ELj3EEvPKT_PiPT1_.uses_vcc, 1
	.set _Z34subtract_right_partial_tile_kernelItii10custom_op1Lj100ELj3EEvPKT_PiPT1_.uses_flat_scratch, 0
	.set _Z34subtract_right_partial_tile_kernelItii10custom_op1Lj100ELj3EEvPKT_PiPT1_.has_dyn_sized_stack, 0
	.set _Z34subtract_right_partial_tile_kernelItii10custom_op1Lj100ELj3EEvPKT_PiPT1_.has_recursion, 0
	.set _Z34subtract_right_partial_tile_kernelItii10custom_op1Lj100ELj3EEvPKT_PiPT1_.has_indirect_call, 0
	.section	.AMDGPU.csdata,"",@progbits
; Kernel info:
; codeLenInByte = 340
; TotalNumSgprs: 13
; NumVgprs: 11
; ScratchSize: 0
; MemoryBound: 0
; FloatMode: 240
; IeeeMode: 1
; LDSByteSize: 400 bytes/workgroup (compile time only)
; SGPRBlocks: 0
; VGPRBlocks: 0
; NumSGPRsForWavesPerEU: 13
; NumVGPRsForWavesPerEU: 11
; NamedBarCnt: 0
; Occupancy: 16
; WaveLimiterHint : 0
; COMPUTE_PGM_RSRC2:SCRATCH_EN: 0
; COMPUTE_PGM_RSRC2:USER_SGPR: 2
; COMPUTE_PGM_RSRC2:TRAP_HANDLER: 0
; COMPUTE_PGM_RSRC2:TGID_X_EN: 1
; COMPUTE_PGM_RSRC2:TGID_Y_EN: 0
; COMPUTE_PGM_RSRC2:TGID_Z_EN: 0
; COMPUTE_PGM_RSRC2:TIDIG_COMP_CNT: 0
	.section	.text._Z34subtract_right_partial_tile_kernelIdjjN6hipcub3SumELj464ELj2EEvPKT_PiPT1_,"axG",@progbits,_Z34subtract_right_partial_tile_kernelIdjjN6hipcub3SumELj464ELj2EEvPKT_PiPT1_,comdat
	.protected	_Z34subtract_right_partial_tile_kernelIdjjN6hipcub3SumELj464ELj2EEvPKT_PiPT1_ ; -- Begin function _Z34subtract_right_partial_tile_kernelIdjjN6hipcub3SumELj464ELj2EEvPKT_PiPT1_
	.globl	_Z34subtract_right_partial_tile_kernelIdjjN6hipcub3SumELj464ELj2EEvPKT_PiPT1_
	.p2align	8
	.type	_Z34subtract_right_partial_tile_kernelIdjjN6hipcub3SumELj464ELj2EEvPKT_PiPT1_,@function
_Z34subtract_right_partial_tile_kernelIdjjN6hipcub3SumELj464ELj2EEvPKT_PiPT1_: ; @_Z34subtract_right_partial_tile_kernelIdjjN6hipcub3SumELj464ELj2EEvPKT_PiPT1_
; %bb.0:
	s_load_b128 s[4:7], s[0:1], 0x0
	s_bfe_u32 s2, ttmp6, 0x4000c
	s_and_b32 s3, ttmp6, 15
	s_add_co_i32 s2, s2, 1
	s_getreg_b32 s8, hwreg(HW_REG_IB_STS2, 6, 4)
	s_mul_i32 s2, ttmp9, s2
	s_wait_xcnt 0x0
	s_load_b64 s[0:1], s[0:1], 0x10
	s_add_co_i32 s3, s3, s2
	s_cmp_eq_u32 s8, 0
	v_mov_b32_e32 v7, 0
	s_cselect_b32 s10, ttmp9, s3
	s_mov_b32 s3, 0
	s_mul_i32 s2, s10, 0x3a0
	s_delay_alu instid0(SALU_CYCLE_1)
	s_lshl_b64 s[8:9], s[2:3], 3
	s_wait_kmcnt 0x0
	s_add_nc_u64 s[4:5], s[4:5], s[8:9]
	global_load_b128 v[2:5], v0, s[4:5] scale_offset
	v_lshlrev_b32_e32 v6, 1, v0
	s_wait_xcnt 0x0
	s_load_b32 s4, s[6:7], s10 offset:0x0 scale_offset
	s_delay_alu instid0(VALU_DEP_1) | instskip(SKIP_1) | instid1(VALU_DEP_1)
	v_dual_lshlrev_b32 v0, 3, v0 :: v_dual_bitop2_b32 v1, 1, v6 bitop3:0x54
	s_wait_kmcnt 0x0
	v_cmp_gt_u32_e32 vcc_lo, s4, v1
	s_wait_loadcnt 0x0
	v_add_f64_e32 v[8:9], v[2:3], v[4:5]
	ds_store_b64 v0, v[2:3] offset:3712
	s_wait_dscnt 0x0
	s_barrier_signal -1
	s_barrier_wait -1
	v_dual_cndmask_b32 v9, v3, v9 :: v_dual_cndmask_b32 v8, v2, v8
	v_add_nc_u32_e32 v1, 2, v6
	s_delay_alu instid0(VALU_DEP_2) | instskip(SKIP_1) | instid1(VALU_DEP_3)
	v_cvt_u32_f64_e32 v8, v[8:9]
	v_cvt_u32_f64_e32 v9, v[4:5]
	v_cmp_gt_u32_e32 vcc_lo, s4, v1
	s_and_saveexec_b32 s4, vcc_lo
	s_cbranch_execz .LBB128_2
; %bb.1:
	ds_load_b64 v[0:1], v0 offset:3720
	s_wait_dscnt 0x0
	v_add_f64_e32 v[0:1], v[4:5], v[0:1]
	s_delay_alu instid0(VALU_DEP_1)
	v_cvt_u32_f64_e32 v9, v[0:1]
.LBB128_2:
	s_or_b32 exec_lo, exec_lo, s4
	s_lshl_b64 s[2:3], s[2:3], 2
	s_delay_alu instid0(SALU_CYCLE_1) | instskip(NEXT) | instid1(SALU_CYCLE_1)
	s_add_nc_u64 s[0:1], s[0:1], s[2:3]
	v_lshl_add_u64 v[0:1], v[6:7], 2, s[0:1]
	global_store_b64 v[0:1], v[8:9], off
	s_endpgm
	.section	.rodata,"a",@progbits
	.p2align	6, 0x0
	.amdhsa_kernel _Z34subtract_right_partial_tile_kernelIdjjN6hipcub3SumELj464ELj2EEvPKT_PiPT1_
		.amdhsa_group_segment_fixed_size 7424
		.amdhsa_private_segment_fixed_size 0
		.amdhsa_kernarg_size 24
		.amdhsa_user_sgpr_count 2
		.amdhsa_user_sgpr_dispatch_ptr 0
		.amdhsa_user_sgpr_queue_ptr 0
		.amdhsa_user_sgpr_kernarg_segment_ptr 1
		.amdhsa_user_sgpr_dispatch_id 0
		.amdhsa_user_sgpr_kernarg_preload_length 0
		.amdhsa_user_sgpr_kernarg_preload_offset 0
		.amdhsa_user_sgpr_private_segment_size 0
		.amdhsa_wavefront_size32 1
		.amdhsa_uses_dynamic_stack 0
		.amdhsa_enable_private_segment 0
		.amdhsa_system_sgpr_workgroup_id_x 1
		.amdhsa_system_sgpr_workgroup_id_y 0
		.amdhsa_system_sgpr_workgroup_id_z 0
		.amdhsa_system_sgpr_workgroup_info 0
		.amdhsa_system_vgpr_workitem_id 0
		.amdhsa_next_free_vgpr 10
		.amdhsa_next_free_sgpr 11
		.amdhsa_named_barrier_count 0
		.amdhsa_reserve_vcc 1
		.amdhsa_float_round_mode_32 0
		.amdhsa_float_round_mode_16_64 0
		.amdhsa_float_denorm_mode_32 3
		.amdhsa_float_denorm_mode_16_64 3
		.amdhsa_fp16_overflow 0
		.amdhsa_memory_ordered 1
		.amdhsa_forward_progress 1
		.amdhsa_inst_pref_size 3
		.amdhsa_round_robin_scheduling 0
		.amdhsa_exception_fp_ieee_invalid_op 0
		.amdhsa_exception_fp_denorm_src 0
		.amdhsa_exception_fp_ieee_div_zero 0
		.amdhsa_exception_fp_ieee_overflow 0
		.amdhsa_exception_fp_ieee_underflow 0
		.amdhsa_exception_fp_ieee_inexact 0
		.amdhsa_exception_int_div_zero 0
	.end_amdhsa_kernel
	.section	.text._Z34subtract_right_partial_tile_kernelIdjjN6hipcub3SumELj464ELj2EEvPKT_PiPT1_,"axG",@progbits,_Z34subtract_right_partial_tile_kernelIdjjN6hipcub3SumELj464ELj2EEvPKT_PiPT1_,comdat
.Lfunc_end128:
	.size	_Z34subtract_right_partial_tile_kernelIdjjN6hipcub3SumELj464ELj2EEvPKT_PiPT1_, .Lfunc_end128-_Z34subtract_right_partial_tile_kernelIdjjN6hipcub3SumELj464ELj2EEvPKT_PiPT1_
                                        ; -- End function
	.set _Z34subtract_right_partial_tile_kernelIdjjN6hipcub3SumELj464ELj2EEvPKT_PiPT1_.num_vgpr, 10
	.set _Z34subtract_right_partial_tile_kernelIdjjN6hipcub3SumELj464ELj2EEvPKT_PiPT1_.num_agpr, 0
	.set _Z34subtract_right_partial_tile_kernelIdjjN6hipcub3SumELj464ELj2EEvPKT_PiPT1_.numbered_sgpr, 11
	.set _Z34subtract_right_partial_tile_kernelIdjjN6hipcub3SumELj464ELj2EEvPKT_PiPT1_.num_named_barrier, 0
	.set _Z34subtract_right_partial_tile_kernelIdjjN6hipcub3SumELj464ELj2EEvPKT_PiPT1_.private_seg_size, 0
	.set _Z34subtract_right_partial_tile_kernelIdjjN6hipcub3SumELj464ELj2EEvPKT_PiPT1_.uses_vcc, 1
	.set _Z34subtract_right_partial_tile_kernelIdjjN6hipcub3SumELj464ELj2EEvPKT_PiPT1_.uses_flat_scratch, 0
	.set _Z34subtract_right_partial_tile_kernelIdjjN6hipcub3SumELj464ELj2EEvPKT_PiPT1_.has_dyn_sized_stack, 0
	.set _Z34subtract_right_partial_tile_kernelIdjjN6hipcub3SumELj464ELj2EEvPKT_PiPT1_.has_recursion, 0
	.set _Z34subtract_right_partial_tile_kernelIdjjN6hipcub3SumELj464ELj2EEvPKT_PiPT1_.has_indirect_call, 0
	.section	.AMDGPU.csdata,"",@progbits
; Kernel info:
; codeLenInByte = 268
; TotalNumSgprs: 13
; NumVgprs: 10
; ScratchSize: 0
; MemoryBound: 0
; FloatMode: 240
; IeeeMode: 1
; LDSByteSize: 7424 bytes/workgroup (compile time only)
; SGPRBlocks: 0
; VGPRBlocks: 0
; NumSGPRsForWavesPerEU: 13
; NumVGPRsForWavesPerEU: 10
; NamedBarCnt: 0
; Occupancy: 15
; WaveLimiterHint : 0
; COMPUTE_PGM_RSRC2:SCRATCH_EN: 0
; COMPUTE_PGM_RSRC2:USER_SGPR: 2
; COMPUTE_PGM_RSRC2:TRAP_HANDLER: 0
; COMPUTE_PGM_RSRC2:TGID_X_EN: 1
; COMPUTE_PGM_RSRC2:TGID_Y_EN: 0
; COMPUTE_PGM_RSRC2:TGID_Z_EN: 0
; COMPUTE_PGM_RSRC2:TIDIG_COMP_CNT: 0
	.section	.text._Z34subtract_right_partial_tile_kernelIdii10custom_op2Lj33ELj5EEvPKT_PiPT1_,"axG",@progbits,_Z34subtract_right_partial_tile_kernelIdii10custom_op2Lj33ELj5EEvPKT_PiPT1_,comdat
	.protected	_Z34subtract_right_partial_tile_kernelIdii10custom_op2Lj33ELj5EEvPKT_PiPT1_ ; -- Begin function _Z34subtract_right_partial_tile_kernelIdii10custom_op2Lj33ELj5EEvPKT_PiPT1_
	.globl	_Z34subtract_right_partial_tile_kernelIdii10custom_op2Lj33ELj5EEvPKT_PiPT1_
	.p2align	8
	.type	_Z34subtract_right_partial_tile_kernelIdii10custom_op2Lj33ELj5EEvPKT_PiPT1_,@function
_Z34subtract_right_partial_tile_kernelIdii10custom_op2Lj33ELj5EEvPKT_PiPT1_: ; @_Z34subtract_right_partial_tile_kernelIdii10custom_op2Lj33ELj5EEvPKT_PiPT1_
; %bb.0:
	s_load_b128 s[4:7], s[0:1], 0x0
	s_bfe_u32 s2, ttmp6, 0x4000c
	s_and_b32 s3, ttmp6, 15
	s_add_co_i32 s2, s2, 1
	s_getreg_b32 s8, hwreg(HW_REG_IB_STS2, 6, 4)
	s_mul_i32 s2, ttmp9, s2
	v_mul_u32_u24_e32 v1, 5, v0
	s_add_co_i32 s3, s3, s2
	s_cmp_eq_u32 s8, 0
	v_mad_u32_u24 v3, v0, 5, 1
	s_cselect_b32 s10, ttmp9, s3
	s_mov_b32 s3, 0
	s_mul_i32 s2, s10, 0xa5
	v_dual_lshlrev_b32 v2, 3, v1 :: v_dual_lshlrev_b32 v0, 3, v0
	s_lshl_b64 s[8:9], s[2:3], 3
	s_wait_kmcnt 0x0
	s_add_nc_u64 s[4:5], s[4:5], s[8:9]
	s_clause 0x2
	global_load_b128 v[10:13], v2, s[4:5]
	global_load_b64 v[14:15], v1, s[4:5] offset:32 scale_offset
	global_load_b128 v[6:9], v2, s[4:5] offset:16
	s_wait_xcnt 0x0
	s_load_b32 s4, s[6:7], s10 offset:0x0 scale_offset
	s_mov_b32 s5, exec_lo
	s_wait_loadcnt 0x2
	v_cvt_i32_f64_e32 v2, v[10:11]
	ds_store_b64 v0, v[10:11] offset:264
	s_wait_kmcnt 0x0
	v_cmpx_gt_u32_e64 s4, v3
	s_cbranch_execz .LBB129_2
; %bb.1:
	v_fma_f64 v[2:3], v[12:13], 2.0, -v[10:11]
	s_delay_alu instid0(VALU_DEP_1)
	v_cvt_i32_f64_e32 v2, v[2:3]
.LBB129_2:
	s_or_b32 exec_lo, exec_lo, s5
	v_cvt_i32_f64_e32 v3, v[12:13]
	v_add_nc_u32_e32 v4, 2, v1
	s_mov_b32 s5, exec_lo
	s_delay_alu instid0(VALU_DEP_1)
	v_cmpx_gt_u32_e64 s4, v4
	s_cbranch_execz .LBB129_4
; %bb.3:
	s_wait_loadcnt 0x0
	v_fma_f64 v[4:5], v[6:7], 2.0, -v[12:13]
	s_delay_alu instid0(VALU_DEP_1)
	v_cvt_i32_f64_e32 v3, v[4:5]
.LBB129_4:
	s_or_b32 exec_lo, exec_lo, s5
	s_wait_loadcnt 0x0
	v_cvt_i32_f64_e32 v4, v[6:7]
	s_load_b64 s[0:1], s[0:1], 0x10
	v_add_nc_u32_e32 v5, 3, v1
	s_mov_b32 s5, exec_lo
	s_delay_alu instid0(VALU_DEP_1)
	v_cmpx_gt_u32_e64 s4, v5
	s_cbranch_execz .LBB129_6
; %bb.5:
	v_fma_f64 v[4:5], v[8:9], 2.0, -v[6:7]
	s_delay_alu instid0(VALU_DEP_1)
	v_cvt_i32_f64_e32 v4, v[4:5]
.LBB129_6:
	s_or_b32 exec_lo, exec_lo, s5
	v_cvt_i32_f64_e32 v5, v[8:9]
	v_add_nc_u32_e32 v6, 4, v1
	s_mov_b32 s5, exec_lo
	s_delay_alu instid0(VALU_DEP_1)
	v_cmpx_gt_u32_e64 s4, v6
	s_cbranch_execz .LBB129_8
; %bb.7:
	v_fma_f64 v[6:7], v[14:15], 2.0, -v[8:9]
	s_delay_alu instid0(VALU_DEP_1)
	v_cvt_i32_f64_e32 v5, v[6:7]
.LBB129_8:
	s_or_b32 exec_lo, exec_lo, s5
	v_cvt_i32_f64_e32 v6, v[14:15]
	v_add_nc_u32_e32 v7, 5, v1
	s_wait_dscnt 0x0
	s_barrier_signal -1
	s_barrier_wait -1
	s_delay_alu instid0(VALU_DEP_1)
	v_cmp_gt_u32_e32 vcc_lo, s4, v7
	s_and_saveexec_b32 s4, vcc_lo
	s_cbranch_execz .LBB129_10
; %bb.9:
	ds_load_b64 v[6:7], v0 offset:272
	s_wait_dscnt 0x0
	v_fma_f64 v[6:7], v[6:7], 2.0, -v[14:15]
	s_delay_alu instid0(VALU_DEP_1)
	v_cvt_i32_f64_e32 v6, v[6:7]
.LBB129_10:
	s_or_b32 exec_lo, exec_lo, s4
	v_lshlrev_b32_e32 v0, 2, v1
	s_lshl_b64 s[2:3], s[2:3], 2
	s_wait_kmcnt 0x0
	s_add_nc_u64 s[0:1], s[0:1], s[2:3]
	s_clause 0x1
	global_store_b128 v0, v[2:5], s[0:1]
	global_store_b32 v1, v6, s[0:1] offset:16 scale_offset
	s_endpgm
	.section	.rodata,"a",@progbits
	.p2align	6, 0x0
	.amdhsa_kernel _Z34subtract_right_partial_tile_kernelIdii10custom_op2Lj33ELj5EEvPKT_PiPT1_
		.amdhsa_group_segment_fixed_size 528
		.amdhsa_private_segment_fixed_size 0
		.amdhsa_kernarg_size 24
		.amdhsa_user_sgpr_count 2
		.amdhsa_user_sgpr_dispatch_ptr 0
		.amdhsa_user_sgpr_queue_ptr 0
		.amdhsa_user_sgpr_kernarg_segment_ptr 1
		.amdhsa_user_sgpr_dispatch_id 0
		.amdhsa_user_sgpr_kernarg_preload_length 0
		.amdhsa_user_sgpr_kernarg_preload_offset 0
		.amdhsa_user_sgpr_private_segment_size 0
		.amdhsa_wavefront_size32 1
		.amdhsa_uses_dynamic_stack 0
		.amdhsa_enable_private_segment 0
		.amdhsa_system_sgpr_workgroup_id_x 1
		.amdhsa_system_sgpr_workgroup_id_y 0
		.amdhsa_system_sgpr_workgroup_id_z 0
		.amdhsa_system_sgpr_workgroup_info 0
		.amdhsa_system_vgpr_workitem_id 0
		.amdhsa_next_free_vgpr 16
		.amdhsa_next_free_sgpr 11
		.amdhsa_named_barrier_count 0
		.amdhsa_reserve_vcc 1
		.amdhsa_float_round_mode_32 0
		.amdhsa_float_round_mode_16_64 0
		.amdhsa_float_denorm_mode_32 3
		.amdhsa_float_denorm_mode_16_64 3
		.amdhsa_fp16_overflow 0
		.amdhsa_memory_ordered 1
		.amdhsa_forward_progress 1
		.amdhsa_inst_pref_size 4
		.amdhsa_round_robin_scheduling 0
		.amdhsa_exception_fp_ieee_invalid_op 0
		.amdhsa_exception_fp_denorm_src 0
		.amdhsa_exception_fp_ieee_div_zero 0
		.amdhsa_exception_fp_ieee_overflow 0
		.amdhsa_exception_fp_ieee_underflow 0
		.amdhsa_exception_fp_ieee_inexact 0
		.amdhsa_exception_int_div_zero 0
	.end_amdhsa_kernel
	.section	.text._Z34subtract_right_partial_tile_kernelIdii10custom_op2Lj33ELj5EEvPKT_PiPT1_,"axG",@progbits,_Z34subtract_right_partial_tile_kernelIdii10custom_op2Lj33ELj5EEvPKT_PiPT1_,comdat
.Lfunc_end129:
	.size	_Z34subtract_right_partial_tile_kernelIdii10custom_op2Lj33ELj5EEvPKT_PiPT1_, .Lfunc_end129-_Z34subtract_right_partial_tile_kernelIdii10custom_op2Lj33ELj5EEvPKT_PiPT1_
                                        ; -- End function
	.set _Z34subtract_right_partial_tile_kernelIdii10custom_op2Lj33ELj5EEvPKT_PiPT1_.num_vgpr, 16
	.set _Z34subtract_right_partial_tile_kernelIdii10custom_op2Lj33ELj5EEvPKT_PiPT1_.num_agpr, 0
	.set _Z34subtract_right_partial_tile_kernelIdii10custom_op2Lj33ELj5EEvPKT_PiPT1_.numbered_sgpr, 11
	.set _Z34subtract_right_partial_tile_kernelIdii10custom_op2Lj33ELj5EEvPKT_PiPT1_.num_named_barrier, 0
	.set _Z34subtract_right_partial_tile_kernelIdii10custom_op2Lj33ELj5EEvPKT_PiPT1_.private_seg_size, 0
	.set _Z34subtract_right_partial_tile_kernelIdii10custom_op2Lj33ELj5EEvPKT_PiPT1_.uses_vcc, 1
	.set _Z34subtract_right_partial_tile_kernelIdii10custom_op2Lj33ELj5EEvPKT_PiPT1_.uses_flat_scratch, 0
	.set _Z34subtract_right_partial_tile_kernelIdii10custom_op2Lj33ELj5EEvPKT_PiPT1_.has_dyn_sized_stack, 0
	.set _Z34subtract_right_partial_tile_kernelIdii10custom_op2Lj33ELj5EEvPKT_PiPT1_.has_recursion, 0
	.set _Z34subtract_right_partial_tile_kernelIdii10custom_op2Lj33ELj5EEvPKT_PiPT1_.has_indirect_call, 0
	.section	.AMDGPU.csdata,"",@progbits
; Kernel info:
; codeLenInByte = 476
; TotalNumSgprs: 13
; NumVgprs: 16
; ScratchSize: 0
; MemoryBound: 0
; FloatMode: 240
; IeeeMode: 1
; LDSByteSize: 528 bytes/workgroup (compile time only)
; SGPRBlocks: 0
; VGPRBlocks: 0
; NumSGPRsForWavesPerEU: 13
; NumVGPRsForWavesPerEU: 16
; NamedBarCnt: 0
; Occupancy: 16
; WaveLimiterHint : 0
; COMPUTE_PGM_RSRC2:SCRATCH_EN: 0
; COMPUTE_PGM_RSRC2:USER_SGPR: 2
; COMPUTE_PGM_RSRC2:TRAP_HANDLER: 0
; COMPUTE_PGM_RSRC2:TGID_X_EN: 1
; COMPUTE_PGM_RSRC2:TGID_Y_EN: 0
; COMPUTE_PGM_RSRC2:TGID_Z_EN: 0
; COMPUTE_PGM_RSRC2:TIDIG_COMP_CNT: 0
	.section	.text._Z34subtract_right_partial_tile_kernelIsss10custom_op1Lj512ELj8EEvPKT_PiPT1_,"axG",@progbits,_Z34subtract_right_partial_tile_kernelIsss10custom_op1Lj512ELj8EEvPKT_PiPT1_,comdat
	.protected	_Z34subtract_right_partial_tile_kernelIsss10custom_op1Lj512ELj8EEvPKT_PiPT1_ ; -- Begin function _Z34subtract_right_partial_tile_kernelIsss10custom_op1Lj512ELj8EEvPKT_PiPT1_
	.globl	_Z34subtract_right_partial_tile_kernelIsss10custom_op1Lj512ELj8EEvPKT_PiPT1_
	.p2align	8
	.type	_Z34subtract_right_partial_tile_kernelIsss10custom_op1Lj512ELj8EEvPKT_PiPT1_,@function
_Z34subtract_right_partial_tile_kernelIsss10custom_op1Lj512ELj8EEvPKT_PiPT1_: ; @_Z34subtract_right_partial_tile_kernelIsss10custom_op1Lj512ELj8EEvPKT_PiPT1_
; %bb.0:
	s_load_b128 s[4:7], s[0:1], 0x0
	s_bfe_u32 s2, ttmp6, 0x4000c
	s_and_b32 s3, ttmp6, 15
	s_add_co_i32 s2, s2, 1
	s_getreg_b32 s8, hwreg(HW_REG_IB_STS2, 6, 4)
	s_mul_i32 s2, ttmp9, s2
	v_dual_mov_b32 v5, 0 :: v_dual_lshlrev_b32 v4, 3, v0
	s_add_co_i32 s3, s3, s2
	s_cmp_eq_u32 s8, 0
	s_wait_xcnt 0x0
	s_load_b64 s[0:1], s[0:1], 0x10
	s_cselect_b32 s8, ttmp9, s3
	s_mov_b32 s3, 0
	s_lshl_b32 s2, s8, 12
	v_add_nc_u32_e32 v15, 8, v4
	s_lshl_b64 s[2:3], s[2:3], 1
	s_wait_kmcnt 0x0
	s_add_nc_u64 s[4:5], s[4:5], s[2:3]
	global_load_b128 v[8:11], v0, s[4:5] scale_offset
	s_wait_xcnt 0x0
	s_load_b32 s4, s[6:7], s8 offset:0x0 scale_offset
	v_lshlrev_b32_e32 v6, 1, v0
	v_or_b32_e32 v0, 1, v4
	v_or_b32_e32 v2, 3, v4
	v_or_b32_e32 v1, 2, v4
	s_wait_kmcnt 0x0
	s_delay_alu instid0(VALU_DEP_3)
	v_cmp_gt_u32_e32 vcc_lo, s4, v0
	s_wait_loadcnt 0x0
	v_dual_lshrrev_b32 v16, 16, v8 :: v_dual_lshrrev_b32 v17, 16, v9
	v_lshrrev_b32_e32 v7, 16, v11
	v_and_b32_e32 v19, 0xffff, v8
	v_lshrrev_b32_e32 v18, 16, v10
	s_delay_alu instid0(VALU_DEP_4)
	v_sub_nc_u16 v23, v8, v16
	v_sub_nc_u16 v24, v9, v17
	v_and_b32_e32 v20, 0xffff, v9
	v_sub_nc_u16 v26, v11, v7
	v_and_b32_e32 v22, 0xffff, v11
	v_and_b32_e32 v23, 0xffff, v23
	v_or_b32_e32 v12, 4, v4
	v_and_b32_e32 v24, 0xffff, v24
	v_sub_nc_u16 v17, v17, v10
	v_sub_nc_u16 v25, v10, v18
	v_cndmask_b32_e32 v0, v19, v23, vcc_lo
	v_cmp_gt_u32_e32 vcc_lo, s4, v2
	v_and_b32_e32 v26, 0xffff, v26
	v_or_b32_e32 v3, 5, v4
	v_and_b32_e32 v21, 0xffff, v10
	v_sub_nc_u16 v16, v16, v9
	v_cndmask_b32_e32 v2, v20, v24, vcc_lo
	v_and_b32_e32 v25, 0xffff, v25
	v_cmp_gt_u32_e32 vcc_lo, s4, v3
	v_or_b32_e32 v13, 6, v4
	ds_store_b16 v6, v8 offset:1024
	v_bfi_b32 v9, 0xffff, v2, v9
	v_perm_b32 v2, v17, v2, 0x5040100
	v_dual_cndmask_b32 v3, v21, v25, vcc_lo :: v_dual_bitop2_b32 v14, 7, v4 bitop3:0x54
	v_bfi_b32 v8, 0xffff, v0, v8
	v_perm_b32 v0, v16, v0, 0x5040100
	v_sub_nc_u16 v18, v18, v11
	s_delay_alu instid0(VALU_DEP_4)
	v_cmp_gt_u32_e32 vcc_lo, s4, v14
	v_bfi_b32 v10, 0xffff, v3, v10
	s_wait_dscnt 0x0
	s_barrier_signal -1
	v_perm_b32 v16, v18, v3, 0x5040100
	v_cndmask_b32_e32 v14, v22, v26, vcc_lo
	v_cmp_gt_u32_e32 vcc_lo, s4, v1
	s_barrier_wait -1
	s_delay_alu instid0(VALU_DEP_2)
	v_bfi_b32 v3, 0xffff, v14, v11
	v_cndmask_b32_e32 v0, v8, v0, vcc_lo
	v_cmp_gt_u32_e32 vcc_lo, s4, v12
	v_cndmask_b32_e32 v1, v9, v2, vcc_lo
	v_cmp_gt_u32_e32 vcc_lo, s4, v13
	;; [unrolled: 2-line block ×3, first 2 shown]
	s_and_saveexec_b32 s4, vcc_lo
	s_cbranch_execz .LBB130_2
; %bb.1:
	ds_load_u16 v6, v6 offset:1026
	s_wait_dscnt 0x0
	v_sub_nc_u16 v6, v7, v6
	s_delay_alu instid0(VALU_DEP_1)
	v_perm_b32 v3, v6, v3, 0x5040100
.LBB130_2:
	s_or_b32 exec_lo, exec_lo, s4
	s_add_nc_u64 s[0:1], s[0:1], s[2:3]
	s_delay_alu instid0(SALU_CYCLE_1)
	v_lshl_add_u64 v[4:5], v[4:5], 1, s[0:1]
	global_store_b128 v[4:5], v[0:3], off
	s_endpgm
	.section	.rodata,"a",@progbits
	.p2align	6, 0x0
	.amdhsa_kernel _Z34subtract_right_partial_tile_kernelIsss10custom_op1Lj512ELj8EEvPKT_PiPT1_
		.amdhsa_group_segment_fixed_size 2048
		.amdhsa_private_segment_fixed_size 0
		.amdhsa_kernarg_size 24
		.amdhsa_user_sgpr_count 2
		.amdhsa_user_sgpr_dispatch_ptr 0
		.amdhsa_user_sgpr_queue_ptr 0
		.amdhsa_user_sgpr_kernarg_segment_ptr 1
		.amdhsa_user_sgpr_dispatch_id 0
		.amdhsa_user_sgpr_kernarg_preload_length 0
		.amdhsa_user_sgpr_kernarg_preload_offset 0
		.amdhsa_user_sgpr_private_segment_size 0
		.amdhsa_wavefront_size32 1
		.amdhsa_uses_dynamic_stack 0
		.amdhsa_enable_private_segment 0
		.amdhsa_system_sgpr_workgroup_id_x 1
		.amdhsa_system_sgpr_workgroup_id_y 0
		.amdhsa_system_sgpr_workgroup_id_z 0
		.amdhsa_system_sgpr_workgroup_info 0
		.amdhsa_system_vgpr_workitem_id 0
		.amdhsa_next_free_vgpr 27
		.amdhsa_next_free_sgpr 9
		.amdhsa_named_barrier_count 0
		.amdhsa_reserve_vcc 1
		.amdhsa_float_round_mode_32 0
		.amdhsa_float_round_mode_16_64 0
		.amdhsa_float_denorm_mode_32 3
		.amdhsa_float_denorm_mode_16_64 3
		.amdhsa_fp16_overflow 0
		.amdhsa_memory_ordered 1
		.amdhsa_forward_progress 1
		.amdhsa_inst_pref_size 5
		.amdhsa_round_robin_scheduling 0
		.amdhsa_exception_fp_ieee_invalid_op 0
		.amdhsa_exception_fp_denorm_src 0
		.amdhsa_exception_fp_ieee_div_zero 0
		.amdhsa_exception_fp_ieee_overflow 0
		.amdhsa_exception_fp_ieee_underflow 0
		.amdhsa_exception_fp_ieee_inexact 0
		.amdhsa_exception_int_div_zero 0
	.end_amdhsa_kernel
	.section	.text._Z34subtract_right_partial_tile_kernelIsss10custom_op1Lj512ELj8EEvPKT_PiPT1_,"axG",@progbits,_Z34subtract_right_partial_tile_kernelIsss10custom_op1Lj512ELj8EEvPKT_PiPT1_,comdat
.Lfunc_end130:
	.size	_Z34subtract_right_partial_tile_kernelIsss10custom_op1Lj512ELj8EEvPKT_PiPT1_, .Lfunc_end130-_Z34subtract_right_partial_tile_kernelIsss10custom_op1Lj512ELj8EEvPKT_PiPT1_
                                        ; -- End function
	.set _Z34subtract_right_partial_tile_kernelIsss10custom_op1Lj512ELj8EEvPKT_PiPT1_.num_vgpr, 27
	.set _Z34subtract_right_partial_tile_kernelIsss10custom_op1Lj512ELj8EEvPKT_PiPT1_.num_agpr, 0
	.set _Z34subtract_right_partial_tile_kernelIsss10custom_op1Lj512ELj8EEvPKT_PiPT1_.numbered_sgpr, 9
	.set _Z34subtract_right_partial_tile_kernelIsss10custom_op1Lj512ELj8EEvPKT_PiPT1_.num_named_barrier, 0
	.set _Z34subtract_right_partial_tile_kernelIsss10custom_op1Lj512ELj8EEvPKT_PiPT1_.private_seg_size, 0
	.set _Z34subtract_right_partial_tile_kernelIsss10custom_op1Lj512ELj8EEvPKT_PiPT1_.uses_vcc, 1
	.set _Z34subtract_right_partial_tile_kernelIsss10custom_op1Lj512ELj8EEvPKT_PiPT1_.uses_flat_scratch, 0
	.set _Z34subtract_right_partial_tile_kernelIsss10custom_op1Lj512ELj8EEvPKT_PiPT1_.has_dyn_sized_stack, 0
	.set _Z34subtract_right_partial_tile_kernelIsss10custom_op1Lj512ELj8EEvPKT_PiPT1_.has_recursion, 0
	.set _Z34subtract_right_partial_tile_kernelIsss10custom_op1Lj512ELj8EEvPKT_PiPT1_.has_indirect_call, 0
	.section	.AMDGPU.csdata,"",@progbits
; Kernel info:
; codeLenInByte = 556
; TotalNumSgprs: 11
; NumVgprs: 27
; ScratchSize: 0
; MemoryBound: 0
; FloatMode: 240
; IeeeMode: 1
; LDSByteSize: 2048 bytes/workgroup (compile time only)
; SGPRBlocks: 0
; VGPRBlocks: 1
; NumSGPRsForWavesPerEU: 11
; NumVGPRsForWavesPerEU: 27
; NamedBarCnt: 0
; Occupancy: 16
; WaveLimiterHint : 0
; COMPUTE_PGM_RSRC2:SCRATCH_EN: 0
; COMPUTE_PGM_RSRC2:USER_SGPR: 2
; COMPUTE_PGM_RSRC2:TRAP_HANDLER: 0
; COMPUTE_PGM_RSRC2:TGID_X_EN: 1
; COMPUTE_PGM_RSRC2:TGID_Y_EN: 0
; COMPUTE_PGM_RSRC2:TGID_Z_EN: 0
; COMPUTE_PGM_RSRC2:TIDIG_COMP_CNT: 0
	.section	.text._Z34subtract_right_partial_tile_kernelIthhN6hipcub3SumELj256ELj7EEvPKT_PiPT1_,"axG",@progbits,_Z34subtract_right_partial_tile_kernelIthhN6hipcub3SumELj256ELj7EEvPKT_PiPT1_,comdat
	.protected	_Z34subtract_right_partial_tile_kernelIthhN6hipcub3SumELj256ELj7EEvPKT_PiPT1_ ; -- Begin function _Z34subtract_right_partial_tile_kernelIthhN6hipcub3SumELj256ELj7EEvPKT_PiPT1_
	.globl	_Z34subtract_right_partial_tile_kernelIthhN6hipcub3SumELj256ELj7EEvPKT_PiPT1_
	.p2align	8
	.type	_Z34subtract_right_partial_tile_kernelIthhN6hipcub3SumELj256ELj7EEvPKT_PiPT1_,@function
_Z34subtract_right_partial_tile_kernelIthhN6hipcub3SumELj256ELj7EEvPKT_PiPT1_: ; @_Z34subtract_right_partial_tile_kernelIthhN6hipcub3SumELj256ELj7EEvPKT_PiPT1_
; %bb.0:
	s_load_b128 s[4:7], s[0:1], 0x0
	s_bfe_u32 s2, ttmp6, 0x4000c
	s_and_b32 s3, ttmp6, 15
	s_add_co_i32 s2, s2, 1
	s_getreg_b32 s8, hwreg(HW_REG_IB_STS2, 6, 4)
	s_mul_i32 s2, ttmp9, s2
	v_mov_b32_e32 v3, 0
	s_add_co_i32 s2, s3, s2
	s_cmp_eq_u32 s8, 0
	s_mov_b32 s3, 0
	s_cselect_b32 s10, ttmp9, s2
	v_mul_u32_u24_e32 v2, 7, v0
	s_mul_i32 s2, s10, 0x700
	s_wait_xcnt 0x0
	s_load_b64 s[0:1], s[0:1], 0x10
	s_lshl_b64 s[8:9], s[2:3], 1
	v_dual_add_nc_u32 v13, 5, v2 :: v_dual_add_nc_u32 v9, 1, v2
	s_wait_kmcnt 0x0
	s_add_nc_u64 s[4:5], s[4:5], s[8:9]
	s_delay_alu instid0(SALU_CYCLE_1)
	v_lshl_add_u64 v[10:11], v[2:3], 1, s[4:5]
	s_clause 0x1
	global_load_b96 v[6:8], v[10:11], off
	global_load_u16 v4, v2, s[4:5] offset:12 scale_offset
	s_wait_xcnt 0x0
	s_load_b32 s4, s[6:7], s10 offset:0x0 scale_offset
	v_add_nc_u32_e32 v11, 2, v2
	s_wait_kmcnt 0x0
	v_cmp_gt_u32_e32 vcc_lo, s4, v9
	s_wait_loadcnt 0x1
	v_dual_lshrrev_b32 v1, 16, v6 :: v_dual_lshrrev_b32 v5, 16, v8
	v_and_b32_e32 v14, 0xff, v6
	v_and_b32_e32 v15, 0xff, v8
	s_delay_alu instid0(VALU_DEP_3) | instskip(NEXT) | instid1(VALU_DEP_4)
	v_add_nc_u16 v10, v1, v6
	v_add_nc_u16 v12, v5, v8
	;; [unrolled: 1-line block ×3, first 2 shown]
	v_lshlrev_b16 v16, 8, v5
	s_wait_loadcnt 0x0
	v_add_nc_u16 v5, v4, v5
	v_and_b32_e32 v10, 0xff, v10
	v_and_b32_e32 v12, 0xff, v12
	v_lshlrev_b16 v1, 8, v1
	s_delay_alu instid0(VALU_DEP_4) | instskip(NEXT) | instid1(VALU_DEP_4)
	v_lshlrev_b16 v5, 8, v5
	v_and_b32_e32 v10, 0xffff, v10
	s_delay_alu instid0(VALU_DEP_4) | instskip(NEXT) | instid1(VALU_DEP_2)
	v_and_b32_e32 v12, 0xffff, v12
	v_cndmask_b32_e32 v9, v14, v10, vcc_lo
	v_cmp_gt_u32_e32 vcc_lo, s4, v13
	s_delay_alu instid0(VALU_DEP_3) | instskip(NEXT) | instid1(VALU_DEP_3)
	v_dual_cndmask_b32 v10, v15, v12, vcc_lo :: v_dual_add_nc_u32 v12, 6, v2
	v_or_b32_e32 v1, v9, v1
	v_perm_b32 v9, v9, v6, 0xc0c0204
	v_cmp_gt_u32_e32 vcc_lo, s4, v11
	s_delay_alu instid0(VALU_DEP_4) | instskip(SKIP_3) | instid1(VALU_DEP_4)
	v_bitop3_b16 v14, v10, v16, 0xff bitop3:0xec
	v_bitop3_b16 v5, v10, v5, 0xff bitop3:0xec
	v_and_b32_e32 v1, 0xffff, v1
	v_lshrrev_b32_e32 v13, 16, v7
	v_and_b32_e32 v14, 0xffff, v14
	s_delay_alu instid0(VALU_DEP_4) | instskip(NEXT) | instid1(VALU_DEP_4)
	v_and_b32_e32 v5, 0xffff, v5
	v_cndmask_b32_e32 v1, v9, v1, vcc_lo
	s_delay_alu instid0(VALU_DEP_4)
	v_add_nc_u16 v10, v13, v7
	v_cmp_gt_u32_e32 vcc_lo, s4, v12
	v_add_nc_u32_e32 v9, 3, v2
	v_and_b32_e32 v7, 0xff, v7
	v_add_nc_u16 v8, v8, v13
	v_perm_b32 v10, v10, v1, 0xc0c0304
	v_cndmask_b32_e32 v5, v14, v5, vcc_lo
	v_cmp_gt_u32_e32 vcc_lo, s4, v9
	v_lshlrev_b16 v11, 8, v13
	v_lshlrev_b16 v8, 8, v8
	s_delay_alu instid0(VALU_DEP_4) | instskip(SKIP_1) | instid1(VALU_DEP_2)
	v_dual_cndmask_b32 v7, v7, v10 :: v_dual_lshrrev_b32 v12, 8, v5
	v_add_nc_u32_e32 v9, 4, v2
	v_lshlrev_b16 v10, 8, v12
	s_delay_alu instid0(VALU_DEP_3)
	v_or_b32_e32 v11, v7, v11
	v_or_b32_e32 v7, v7, v8
	v_and_b32_e32 v8, 0xff, v4
	v_cmp_gt_u32_e32 vcc_lo, s4, v9
	v_bitop3_b16 v10, v5, v10, 0xff bitop3:0xec
	v_lshlrev_b32_e32 v5, 1, v0
	s_delay_alu instid0(VALU_DEP_4) | instskip(NEXT) | instid1(VALU_DEP_3)
	v_dual_cndmask_b32 v7, v11, v7 :: v_dual_lshlrev_b32 v0, 16, v8
	v_and_b32_e32 v8, 0xffff, v10
	v_add_nc_u32_e32 v10, 7, v2
	s_delay_alu instid0(VALU_DEP_3) | instskip(SKIP_1) | instid1(VALU_DEP_4)
	v_lshl_or_b32 v9, v7, 16, v1
	v_and_b32_e32 v7, 0xffff, v7
	v_or_b32_e32 v1, v8, v0
	s_delay_alu instid0(VALU_DEP_4)
	v_cmp_gt_u32_e32 vcc_lo, s4, v10
	ds_store_b16 v5, v6 offset:512
	s_wait_dscnt 0x0
	v_perm_b32 v0, v9, v7, 0x7000504
	s_barrier_signal -1
	s_barrier_wait -1
	s_and_saveexec_b32 s4, vcc_lo
	s_cbranch_execz .LBB131_2
; %bb.1:
	ds_load_u8 v5, v5 offset:514
	v_perm_b32 v0, v0, v0, 0x3020104
	s_wait_dscnt 0x0
	v_add_nc_u16 v4, v5, v4
	s_delay_alu instid0(VALU_DEP_1) | instskip(NEXT) | instid1(VALU_DEP_1)
	v_and_b32_e32 v4, 0xff, v4
	v_dual_lshrrev_b32 v6, 8, v1 :: v_dual_lshlrev_b32 v4, 16, v4
	s_delay_alu instid0(VALU_DEP_1) | instskip(NEXT) | instid1(VALU_DEP_1)
	v_lshlrev_b16 v6, 8, v6
	v_bitop3_b16 v1, v1, v6, 0xff bitop3:0xec
	s_delay_alu instid0(VALU_DEP_1) | instskip(NEXT) | instid1(VALU_DEP_1)
	v_and_b32_e32 v1, 0xffff, v1
	v_or_b32_e32 v1, v1, v4
.LBB131_2:
	s_or_b32 exec_lo, exec_lo, s4
	s_delay_alu instid0(VALU_DEP_1) | instskip(SKIP_3) | instid1(VALU_DEP_3)
	v_lshrrev_b32_e32 v4, 8, v1
	s_add_nc_u64 s[0:1], s[0:1], s[2:3]
	v_perm_b32 v0, v0, v0, 0x3020104
	v_add_nc_u64_e32 v[2:3], s[0:1], v[2:3]
	v_lshlrev_b16 v4, 8, v4
	s_delay_alu instid0(VALU_DEP_1)
	v_bitop3_b16 v4, v1, v4, 0xff bitop3:0xec
	s_clause 0x2
	global_store_b32 v[2:3], v0, off
	global_store_d16_hi_b8 v[2:3], v1, off offset:6
	global_store_b16 v[2:3], v4, off offset:4
	s_endpgm
	.section	.rodata,"a",@progbits
	.p2align	6, 0x0
	.amdhsa_kernel _Z34subtract_right_partial_tile_kernelIthhN6hipcub3SumELj256ELj7EEvPKT_PiPT1_
		.amdhsa_group_segment_fixed_size 1024
		.amdhsa_private_segment_fixed_size 0
		.amdhsa_kernarg_size 24
		.amdhsa_user_sgpr_count 2
		.amdhsa_user_sgpr_dispatch_ptr 0
		.amdhsa_user_sgpr_queue_ptr 0
		.amdhsa_user_sgpr_kernarg_segment_ptr 1
		.amdhsa_user_sgpr_dispatch_id 0
		.amdhsa_user_sgpr_kernarg_preload_length 0
		.amdhsa_user_sgpr_kernarg_preload_offset 0
		.amdhsa_user_sgpr_private_segment_size 0
		.amdhsa_wavefront_size32 1
		.amdhsa_uses_dynamic_stack 0
		.amdhsa_enable_private_segment 0
		.amdhsa_system_sgpr_workgroup_id_x 1
		.amdhsa_system_sgpr_workgroup_id_y 0
		.amdhsa_system_sgpr_workgroup_id_z 0
		.amdhsa_system_sgpr_workgroup_info 0
		.amdhsa_system_vgpr_workitem_id 0
		.amdhsa_next_free_vgpr 17
		.amdhsa_next_free_sgpr 11
		.amdhsa_named_barrier_count 0
		.amdhsa_reserve_vcc 1
		.amdhsa_float_round_mode_32 0
		.amdhsa_float_round_mode_16_64 0
		.amdhsa_float_denorm_mode_32 3
		.amdhsa_float_denorm_mode_16_64 3
		.amdhsa_fp16_overflow 0
		.amdhsa_memory_ordered 1
		.amdhsa_forward_progress 1
		.amdhsa_inst_pref_size 7
		.amdhsa_round_robin_scheduling 0
		.amdhsa_exception_fp_ieee_invalid_op 0
		.amdhsa_exception_fp_denorm_src 0
		.amdhsa_exception_fp_ieee_div_zero 0
		.amdhsa_exception_fp_ieee_overflow 0
		.amdhsa_exception_fp_ieee_underflow 0
		.amdhsa_exception_fp_ieee_inexact 0
		.amdhsa_exception_int_div_zero 0
	.end_amdhsa_kernel
	.section	.text._Z34subtract_right_partial_tile_kernelIthhN6hipcub3SumELj256ELj7EEvPKT_PiPT1_,"axG",@progbits,_Z34subtract_right_partial_tile_kernelIthhN6hipcub3SumELj256ELj7EEvPKT_PiPT1_,comdat
.Lfunc_end131:
	.size	_Z34subtract_right_partial_tile_kernelIthhN6hipcub3SumELj256ELj7EEvPKT_PiPT1_, .Lfunc_end131-_Z34subtract_right_partial_tile_kernelIthhN6hipcub3SumELj256ELj7EEvPKT_PiPT1_
                                        ; -- End function
	.set _Z34subtract_right_partial_tile_kernelIthhN6hipcub3SumELj256ELj7EEvPKT_PiPT1_.num_vgpr, 17
	.set _Z34subtract_right_partial_tile_kernelIthhN6hipcub3SumELj256ELj7EEvPKT_PiPT1_.num_agpr, 0
	.set _Z34subtract_right_partial_tile_kernelIthhN6hipcub3SumELj256ELj7EEvPKT_PiPT1_.numbered_sgpr, 11
	.set _Z34subtract_right_partial_tile_kernelIthhN6hipcub3SumELj256ELj7EEvPKT_PiPT1_.num_named_barrier, 0
	.set _Z34subtract_right_partial_tile_kernelIthhN6hipcub3SumELj256ELj7EEvPKT_PiPT1_.private_seg_size, 0
	.set _Z34subtract_right_partial_tile_kernelIthhN6hipcub3SumELj256ELj7EEvPKT_PiPT1_.uses_vcc, 1
	.set _Z34subtract_right_partial_tile_kernelIthhN6hipcub3SumELj256ELj7EEvPKT_PiPT1_.uses_flat_scratch, 0
	.set _Z34subtract_right_partial_tile_kernelIthhN6hipcub3SumELj256ELj7EEvPKT_PiPT1_.has_dyn_sized_stack, 0
	.set _Z34subtract_right_partial_tile_kernelIthhN6hipcub3SumELj256ELj7EEvPKT_PiPT1_.has_recursion, 0
	.set _Z34subtract_right_partial_tile_kernelIthhN6hipcub3SumELj256ELj7EEvPKT_PiPT1_.has_indirect_call, 0
	.section	.AMDGPU.csdata,"",@progbits
; Kernel info:
; codeLenInByte = 836
; TotalNumSgprs: 13
; NumVgprs: 17
; ScratchSize: 0
; MemoryBound: 0
; FloatMode: 240
; IeeeMode: 1
; LDSByteSize: 1024 bytes/workgroup (compile time only)
; SGPRBlocks: 0
; VGPRBlocks: 1
; NumSGPRsForWavesPerEU: 13
; NumVGPRsForWavesPerEU: 17
; NamedBarCnt: 0
; Occupancy: 16
; WaveLimiterHint : 0
; COMPUTE_PGM_RSRC2:SCRATCH_EN: 0
; COMPUTE_PGM_RSRC2:USER_SGPR: 2
; COMPUTE_PGM_RSRC2:TRAP_HANDLER: 0
; COMPUTE_PGM_RSRC2:TGID_X_EN: 1
; COMPUTE_PGM_RSRC2:TGID_Y_EN: 0
; COMPUTE_PGM_RSRC2:TGID_Z_EN: 0
; COMPUTE_PGM_RSRC2:TIDIG_COMP_CNT: 0
	.section	.text._Z34subtract_right_partial_tile_kernelIiss10custom_op2Lj128ELj4EEvPKT_PiPT1_,"axG",@progbits,_Z34subtract_right_partial_tile_kernelIiss10custom_op2Lj128ELj4EEvPKT_PiPT1_,comdat
	.protected	_Z34subtract_right_partial_tile_kernelIiss10custom_op2Lj128ELj4EEvPKT_PiPT1_ ; -- Begin function _Z34subtract_right_partial_tile_kernelIiss10custom_op2Lj128ELj4EEvPKT_PiPT1_
	.globl	_Z34subtract_right_partial_tile_kernelIiss10custom_op2Lj128ELj4EEvPKT_PiPT1_
	.p2align	8
	.type	_Z34subtract_right_partial_tile_kernelIiss10custom_op2Lj128ELj4EEvPKT_PiPT1_,@function
_Z34subtract_right_partial_tile_kernelIiss10custom_op2Lj128ELj4EEvPKT_PiPT1_: ; @_Z34subtract_right_partial_tile_kernelIiss10custom_op2Lj128ELj4EEvPKT_PiPT1_
; %bb.0:
	s_load_b128 s[4:7], s[0:1], 0x0
	s_bfe_u32 s2, ttmp6, 0x4000c
	s_and_b32 s3, ttmp6, 15
	s_add_co_i32 s2, s2, 1
	s_getreg_b32 s8, hwreg(HW_REG_IB_STS2, 6, 4)
	s_mul_i32 s2, ttmp9, s2
	s_wait_xcnt 0x0
	s_load_b64 s[0:1], s[0:1], 0x10
	s_add_co_i32 s3, s3, s2
	s_cmp_eq_u32 s8, 0
	s_cselect_b32 s10, ttmp9, s3
	s_mov_b32 s3, 0
	s_lshl_b32 s2, s10, 9
	s_delay_alu instid0(SALU_CYCLE_1)
	s_lshl_b64 s[8:9], s[2:3], 2
	s_wait_kmcnt 0x0
	s_add_nc_u64 s[4:5], s[4:5], s[8:9]
	global_load_b128 v[2:5], v0, s[4:5] scale_offset
	s_wait_xcnt 0x0
	s_load_b32 s4, s[6:7], s10 offset:0x0 scale_offset
	v_dual_mov_b32 v1, 0 :: v_dual_lshlrev_b32 v0, 2, v0
	s_wait_loadcnt 0x0
	v_dual_lshlrev_b32 v7, 1, v5 :: v_dual_lshlrev_b32 v6, 1, v3
	s_delay_alu instid0(VALU_DEP_2)
	v_or_b32_e32 v8, 1, v0
	v_lshlrev_b32_e32 v9, 1, v4
	ds_store_b32 v0, v2 offset:512
	v_dual_sub_nc_u32 v7, v7, v4 :: v_dual_sub_nc_u32 v6, v6, v2
	s_wait_kmcnt 0x0
	v_cmp_gt_u32_e32 vcc_lo, s4, v8
	v_dual_sub_nc_u32 v8, v9, v3 :: v_dual_bitop2_b32 v10, 3, v0 bitop3:0x54
	v_or_b32_e32 v9, 2, v0
	v_and_b32_e32 v4, 0xffff, v4
	v_cndmask_b32_e32 v6, v2, v6, vcc_lo
	v_and_b32_e32 v7, 0xffff, v7
	v_cmp_gt_u32_e32 vcc_lo, s4, v10
	s_wait_dscnt 0x0
	s_barrier_signal -1
	v_perm_b32 v3, v3, v6, 0x5040100
	v_perm_b32 v6, v8, v6, 0x5040100
	v_dual_cndmask_b32 v4, v4, v7 :: v_dual_add_nc_u32 v7, 4, v0
	v_cmp_gt_u32_e32 vcc_lo, s4, v9
	s_barrier_wait -1
	s_delay_alu instid0(VALU_DEP_3) | instskip(NEXT) | instid1(VALU_DEP_3)
	v_cndmask_b32_e32 v2, v3, v6, vcc_lo
	v_perm_b32 v3, v5, v4, 0x5040100
	v_cmp_gt_u32_e32 vcc_lo, s4, v7
	s_and_saveexec_b32 s4, vcc_lo
	s_cbranch_execz .LBB132_2
; %bb.1:
	ds_load_b32 v4, v0 offset:516
	s_wait_dscnt 0x0
	v_lshlrev_b32_e32 v4, 1, v4
	s_delay_alu instid0(VALU_DEP_1) | instskip(NEXT) | instid1(VALU_DEP_1)
	v_sub_nc_u32_e32 v4, v4, v5
	v_perm_b32 v3, v4, v3, 0x5040100
.LBB132_2:
	s_or_b32 exec_lo, exec_lo, s4
	s_lshl_b64 s[2:3], s[2:3], 1
	s_delay_alu instid0(SALU_CYCLE_1) | instskip(NEXT) | instid1(SALU_CYCLE_1)
	s_add_nc_u64 s[0:1], s[0:1], s[2:3]
	v_lshl_add_u64 v[0:1], v[0:1], 1, s[0:1]
	global_store_b64 v[0:1], v[2:3], off
	s_endpgm
	.section	.rodata,"a",@progbits
	.p2align	6, 0x0
	.amdhsa_kernel _Z34subtract_right_partial_tile_kernelIiss10custom_op2Lj128ELj4EEvPKT_PiPT1_
		.amdhsa_group_segment_fixed_size 1024
		.amdhsa_private_segment_fixed_size 0
		.amdhsa_kernarg_size 24
		.amdhsa_user_sgpr_count 2
		.amdhsa_user_sgpr_dispatch_ptr 0
		.amdhsa_user_sgpr_queue_ptr 0
		.amdhsa_user_sgpr_kernarg_segment_ptr 1
		.amdhsa_user_sgpr_dispatch_id 0
		.amdhsa_user_sgpr_kernarg_preload_length 0
		.amdhsa_user_sgpr_kernarg_preload_offset 0
		.amdhsa_user_sgpr_private_segment_size 0
		.amdhsa_wavefront_size32 1
		.amdhsa_uses_dynamic_stack 0
		.amdhsa_enable_private_segment 0
		.amdhsa_system_sgpr_workgroup_id_x 1
		.amdhsa_system_sgpr_workgroup_id_y 0
		.amdhsa_system_sgpr_workgroup_id_z 0
		.amdhsa_system_sgpr_workgroup_info 0
		.amdhsa_system_vgpr_workitem_id 0
		.amdhsa_next_free_vgpr 11
		.amdhsa_next_free_sgpr 11
		.amdhsa_named_barrier_count 0
		.amdhsa_reserve_vcc 1
		.amdhsa_float_round_mode_32 0
		.amdhsa_float_round_mode_16_64 0
		.amdhsa_float_denorm_mode_32 3
		.amdhsa_float_denorm_mode_16_64 3
		.amdhsa_fp16_overflow 0
		.amdhsa_memory_ordered 1
		.amdhsa_forward_progress 1
		.amdhsa_inst_pref_size 3
		.amdhsa_round_robin_scheduling 0
		.amdhsa_exception_fp_ieee_invalid_op 0
		.amdhsa_exception_fp_denorm_src 0
		.amdhsa_exception_fp_ieee_div_zero 0
		.amdhsa_exception_fp_ieee_overflow 0
		.amdhsa_exception_fp_ieee_underflow 0
		.amdhsa_exception_fp_ieee_inexact 0
		.amdhsa_exception_int_div_zero 0
	.end_amdhsa_kernel
	.section	.text._Z34subtract_right_partial_tile_kernelIiss10custom_op2Lj128ELj4EEvPKT_PiPT1_,"axG",@progbits,_Z34subtract_right_partial_tile_kernelIiss10custom_op2Lj128ELj4EEvPKT_PiPT1_,comdat
.Lfunc_end132:
	.size	_Z34subtract_right_partial_tile_kernelIiss10custom_op2Lj128ELj4EEvPKT_PiPT1_, .Lfunc_end132-_Z34subtract_right_partial_tile_kernelIiss10custom_op2Lj128ELj4EEvPKT_PiPT1_
                                        ; -- End function
	.set _Z34subtract_right_partial_tile_kernelIiss10custom_op2Lj128ELj4EEvPKT_PiPT1_.num_vgpr, 11
	.set _Z34subtract_right_partial_tile_kernelIiss10custom_op2Lj128ELj4EEvPKT_PiPT1_.num_agpr, 0
	.set _Z34subtract_right_partial_tile_kernelIiss10custom_op2Lj128ELj4EEvPKT_PiPT1_.numbered_sgpr, 11
	.set _Z34subtract_right_partial_tile_kernelIiss10custom_op2Lj128ELj4EEvPKT_PiPT1_.num_named_barrier, 0
	.set _Z34subtract_right_partial_tile_kernelIiss10custom_op2Lj128ELj4EEvPKT_PiPT1_.private_seg_size, 0
	.set _Z34subtract_right_partial_tile_kernelIiss10custom_op2Lj128ELj4EEvPKT_PiPT1_.uses_vcc, 1
	.set _Z34subtract_right_partial_tile_kernelIiss10custom_op2Lj128ELj4EEvPKT_PiPT1_.uses_flat_scratch, 0
	.set _Z34subtract_right_partial_tile_kernelIiss10custom_op2Lj128ELj4EEvPKT_PiPT1_.has_dyn_sized_stack, 0
	.set _Z34subtract_right_partial_tile_kernelIiss10custom_op2Lj128ELj4EEvPKT_PiPT1_.has_recursion, 0
	.set _Z34subtract_right_partial_tile_kernelIiss10custom_op2Lj128ELj4EEvPKT_PiPT1_.has_indirect_call, 0
	.section	.AMDGPU.csdata,"",@progbits
; Kernel info:
; codeLenInByte = 364
; TotalNumSgprs: 13
; NumVgprs: 11
; ScratchSize: 0
; MemoryBound: 0
; FloatMode: 240
; IeeeMode: 1
; LDSByteSize: 1024 bytes/workgroup (compile time only)
; SGPRBlocks: 0
; VGPRBlocks: 0
; NumSGPRsForWavesPerEU: 13
; NumVGPRsForWavesPerEU: 11
; NamedBarCnt: 0
; Occupancy: 16
; WaveLimiterHint : 0
; COMPUTE_PGM_RSRC2:SCRATCH_EN: 0
; COMPUTE_PGM_RSRC2:USER_SGPR: 2
; COMPUTE_PGM_RSRC2:TRAP_HANDLER: 0
; COMPUTE_PGM_RSRC2:TGID_X_EN: 1
; COMPUTE_PGM_RSRC2:TGID_Y_EN: 0
; COMPUTE_PGM_RSRC2:TGID_Z_EN: 0
; COMPUTE_PGM_RSRC2:TIDIG_COMP_CNT: 0
	.section	.text._Z34subtract_right_partial_tile_kernelIicc10custom_op1Lj64ELj2EEvPKT_PiPT1_,"axG",@progbits,_Z34subtract_right_partial_tile_kernelIicc10custom_op1Lj64ELj2EEvPKT_PiPT1_,comdat
	.protected	_Z34subtract_right_partial_tile_kernelIicc10custom_op1Lj64ELj2EEvPKT_PiPT1_ ; -- Begin function _Z34subtract_right_partial_tile_kernelIicc10custom_op1Lj64ELj2EEvPKT_PiPT1_
	.globl	_Z34subtract_right_partial_tile_kernelIicc10custom_op1Lj64ELj2EEvPKT_PiPT1_
	.p2align	8
	.type	_Z34subtract_right_partial_tile_kernelIicc10custom_op1Lj64ELj2EEvPKT_PiPT1_,@function
_Z34subtract_right_partial_tile_kernelIicc10custom_op1Lj64ELj2EEvPKT_PiPT1_: ; @_Z34subtract_right_partial_tile_kernelIicc10custom_op1Lj64ELj2EEvPKT_PiPT1_
; %bb.0:
	s_load_b128 s[4:7], s[0:1], 0x0
	s_bfe_u32 s2, ttmp6, 0x4000c
	s_and_b32 s3, ttmp6, 15
	s_add_co_i32 s2, s2, 1
	s_getreg_b32 s8, hwreg(HW_REG_IB_STS2, 6, 4)
	s_mul_i32 s2, ttmp9, s2
	s_wait_xcnt 0x0
	s_load_b64 s[0:1], s[0:1], 0x10
	s_add_co_i32 s3, s3, s2
	s_cmp_eq_u32 s8, 0
	s_cselect_b32 s10, ttmp9, s3
	s_mov_b32 s3, 0
	s_lshl_b32 s2, s10, 7
	s_delay_alu instid0(SALU_CYCLE_1)
	s_lshl_b64 s[8:9], s[2:3], 2
	s_wait_kmcnt 0x0
	s_add_nc_u64 s[4:5], s[4:5], s[8:9]
	global_load_b64 v[4:5], v0, s[4:5] scale_offset
	s_wait_xcnt 0x0
	s_load_b32 s4, s[6:7], s10 offset:0x0 scale_offset
	v_lshlrev_b32_e32 v2, 1, v0
	s_delay_alu instid0(VALU_DEP_1) | instskip(SKIP_1) | instid1(VALU_DEP_1)
	v_or_b32_e32 v1, 1, v2
	s_wait_kmcnt 0x0
	v_cmp_gt_u32_e32 vcc_lo, s4, v1
	s_wait_loadcnt 0x0
	v_dual_cndmask_b32 v3, 0, v5, vcc_lo :: v_dual_lshlrev_b32 v1, 2, v0
	s_delay_alu instid0(VALU_DEP_1) | instskip(SKIP_1) | instid1(VALU_DEP_2)
	v_dual_add_nc_u32 v6, 2, v2 :: v_dual_sub_nc_u32 v0, v4, v3
	v_mov_b32_e32 v3, 0
	v_cmp_gt_u32_e32 vcc_lo, s4, v6
	ds_store_b32 v1, v4 offset:256
	s_wait_dscnt 0x0
	v_perm_b32 v0, v0, v5, 0xc0c0004
	s_barrier_signal -1
	s_barrier_wait -1
	s_and_saveexec_b32 s4, vcc_lo
	s_cbranch_execz .LBB133_2
; %bb.1:
	ds_load_b32 v1, v1 offset:260
	s_wait_dscnt 0x0
	v_sub_nc_u32_e32 v1, v5, v1
	s_delay_alu instid0(VALU_DEP_1) | instskip(NEXT) | instid1(VALU_DEP_1)
	v_lshlrev_b16 v1, 8, v1
	v_bitop3_b16 v0, v0, v1, 0xff bitop3:0xec
	s_delay_alu instid0(VALU_DEP_1)
	v_and_b32_e32 v0, 0xffff, v0
.LBB133_2:
	s_or_b32 exec_lo, exec_lo, s4
	s_add_nc_u64 s[0:1], s[0:1], s[2:3]
	s_delay_alu instid0(SALU_CYCLE_1)
	v_add_nc_u64_e32 v[2:3], s[0:1], v[2:3]
	global_store_b16 v[2:3], v0, off
	s_endpgm
	.section	.rodata,"a",@progbits
	.p2align	6, 0x0
	.amdhsa_kernel _Z34subtract_right_partial_tile_kernelIicc10custom_op1Lj64ELj2EEvPKT_PiPT1_
		.amdhsa_group_segment_fixed_size 512
		.amdhsa_private_segment_fixed_size 0
		.amdhsa_kernarg_size 24
		.amdhsa_user_sgpr_count 2
		.amdhsa_user_sgpr_dispatch_ptr 0
		.amdhsa_user_sgpr_queue_ptr 0
		.amdhsa_user_sgpr_kernarg_segment_ptr 1
		.amdhsa_user_sgpr_dispatch_id 0
		.amdhsa_user_sgpr_kernarg_preload_length 0
		.amdhsa_user_sgpr_kernarg_preload_offset 0
		.amdhsa_user_sgpr_private_segment_size 0
		.amdhsa_wavefront_size32 1
		.amdhsa_uses_dynamic_stack 0
		.amdhsa_enable_private_segment 0
		.amdhsa_system_sgpr_workgroup_id_x 1
		.amdhsa_system_sgpr_workgroup_id_y 0
		.amdhsa_system_sgpr_workgroup_id_z 0
		.amdhsa_system_sgpr_workgroup_info 0
		.amdhsa_system_vgpr_workitem_id 0
		.amdhsa_next_free_vgpr 7
		.amdhsa_next_free_sgpr 11
		.amdhsa_named_barrier_count 0
		.amdhsa_reserve_vcc 1
		.amdhsa_float_round_mode_32 0
		.amdhsa_float_round_mode_16_64 0
		.amdhsa_float_denorm_mode_32 3
		.amdhsa_float_denorm_mode_16_64 3
		.amdhsa_fp16_overflow 0
		.amdhsa_memory_ordered 1
		.amdhsa_forward_progress 1
		.amdhsa_inst_pref_size 3
		.amdhsa_round_robin_scheduling 0
		.amdhsa_exception_fp_ieee_invalid_op 0
		.amdhsa_exception_fp_denorm_src 0
		.amdhsa_exception_fp_ieee_div_zero 0
		.amdhsa_exception_fp_ieee_overflow 0
		.amdhsa_exception_fp_ieee_underflow 0
		.amdhsa_exception_fp_ieee_inexact 0
		.amdhsa_exception_int_div_zero 0
	.end_amdhsa_kernel
	.section	.text._Z34subtract_right_partial_tile_kernelIicc10custom_op1Lj64ELj2EEvPKT_PiPT1_,"axG",@progbits,_Z34subtract_right_partial_tile_kernelIicc10custom_op1Lj64ELj2EEvPKT_PiPT1_,comdat
.Lfunc_end133:
	.size	_Z34subtract_right_partial_tile_kernelIicc10custom_op1Lj64ELj2EEvPKT_PiPT1_, .Lfunc_end133-_Z34subtract_right_partial_tile_kernelIicc10custom_op1Lj64ELj2EEvPKT_PiPT1_
                                        ; -- End function
	.set _Z34subtract_right_partial_tile_kernelIicc10custom_op1Lj64ELj2EEvPKT_PiPT1_.num_vgpr, 7
	.set _Z34subtract_right_partial_tile_kernelIicc10custom_op1Lj64ELj2EEvPKT_PiPT1_.num_agpr, 0
	.set _Z34subtract_right_partial_tile_kernelIicc10custom_op1Lj64ELj2EEvPKT_PiPT1_.numbered_sgpr, 11
	.set _Z34subtract_right_partial_tile_kernelIicc10custom_op1Lj64ELj2EEvPKT_PiPT1_.num_named_barrier, 0
	.set _Z34subtract_right_partial_tile_kernelIicc10custom_op1Lj64ELj2EEvPKT_PiPT1_.private_seg_size, 0
	.set _Z34subtract_right_partial_tile_kernelIicc10custom_op1Lj64ELj2EEvPKT_PiPT1_.uses_vcc, 1
	.set _Z34subtract_right_partial_tile_kernelIicc10custom_op1Lj64ELj2EEvPKT_PiPT1_.uses_flat_scratch, 0
	.set _Z34subtract_right_partial_tile_kernelIicc10custom_op1Lj64ELj2EEvPKT_PiPT1_.has_dyn_sized_stack, 0
	.set _Z34subtract_right_partial_tile_kernelIicc10custom_op1Lj64ELj2EEvPKT_PiPT1_.has_recursion, 0
	.set _Z34subtract_right_partial_tile_kernelIicc10custom_op1Lj64ELj2EEvPKT_PiPT1_.has_indirect_call, 0
	.section	.AMDGPU.csdata,"",@progbits
; Kernel info:
; codeLenInByte = 288
; TotalNumSgprs: 13
; NumVgprs: 7
; ScratchSize: 0
; MemoryBound: 0
; FloatMode: 240
; IeeeMode: 1
; LDSByteSize: 512 bytes/workgroup (compile time only)
; SGPRBlocks: 0
; VGPRBlocks: 0
; NumSGPRsForWavesPerEU: 13
; NumVGPRsForWavesPerEU: 7
; NamedBarCnt: 0
; Occupancy: 16
; WaveLimiterHint : 0
; COMPUTE_PGM_RSRC2:SCRATCH_EN: 0
; COMPUTE_PGM_RSRC2:USER_SGPR: 2
; COMPUTE_PGM_RSRC2:TRAP_HANDLER: 0
; COMPUTE_PGM_RSRC2:TGID_X_EN: 1
; COMPUTE_PGM_RSRC2:TGID_Y_EN: 0
; COMPUTE_PGM_RSRC2:TGID_Z_EN: 0
; COMPUTE_PGM_RSRC2:TIDIG_COMP_CNT: 0
	.section	.text._Z34subtract_right_partial_tile_kernelIhbiN6hipcub3SumELj255ELj1EEvPKT_PiPT1_,"axG",@progbits,_Z34subtract_right_partial_tile_kernelIhbiN6hipcub3SumELj255ELj1EEvPKT_PiPT1_,comdat
	.protected	_Z34subtract_right_partial_tile_kernelIhbiN6hipcub3SumELj255ELj1EEvPKT_PiPT1_ ; -- Begin function _Z34subtract_right_partial_tile_kernelIhbiN6hipcub3SumELj255ELj1EEvPKT_PiPT1_
	.globl	_Z34subtract_right_partial_tile_kernelIhbiN6hipcub3SumELj255ELj1EEvPKT_PiPT1_
	.p2align	8
	.type	_Z34subtract_right_partial_tile_kernelIhbiN6hipcub3SumELj255ELj1EEvPKT_PiPT1_,@function
_Z34subtract_right_partial_tile_kernelIhbiN6hipcub3SumELj255ELj1EEvPKT_PiPT1_: ; @_Z34subtract_right_partial_tile_kernelIhbiN6hipcub3SumELj255ELj1EEvPKT_PiPT1_
; %bb.0:
	s_load_b128 s[4:7], s[0:1], 0x0
	s_bfe_u32 s2, ttmp6, 0x4000c
	s_and_b32 s3, ttmp6, 15
	s_add_co_i32 s2, s2, 1
	s_getreg_b32 s8, hwreg(HW_REG_IB_STS2, 6, 4)
	s_mul_i32 s2, ttmp9, s2
	s_wait_xcnt 0x0
	s_load_b64 s[0:1], s[0:1], 0x10
	s_add_co_i32 s3, s3, s2
	s_cmp_eq_u32 s8, 0
	v_add_nc_u32_e32 v2, 1, v0
	s_cselect_b32 s8, ttmp9, s3
	s_mov_b32 s3, 0
	s_mul_i32 s2, s8, 0xff
	s_wait_kmcnt 0x0
	s_add_nc_u64 s[4:5], s[4:5], s[2:3]
	global_load_u8 v1, v0, s[4:5]
	s_wait_xcnt 0x0
	s_load_b32 s4, s[6:7], s8 offset:0x0 scale_offset
	s_wait_kmcnt 0x0
	v_cmp_gt_u32_e32 vcc_lo, s4, v2
	s_wait_loadcnt 0x0
	ds_store_b8 v0, v1 offset:255
	s_wait_dscnt 0x0
	s_barrier_signal -1
	s_barrier_wait -1
	s_and_saveexec_b32 s4, vcc_lo
	s_cbranch_execz .LBB134_2
; %bb.1:
	ds_load_u8 v2, v0 offset:256
	s_wait_dscnt 0x0
	v_or_b32_e32 v1, v2, v1
.LBB134_2:
	s_or_b32 exec_lo, exec_lo, s4
	s_delay_alu instid0(VALU_DEP_1) | instskip(SKIP_1) | instid1(SALU_CYCLE_1)
	v_and_b32_e32 v1, 0xff, v1
	s_lshl_b64 s[2:3], s[2:3], 2
	s_add_nc_u64 s[0:1], s[0:1], s[2:3]
	s_delay_alu instid0(VALU_DEP_1)
	v_cmp_ne_u16_e32 vcc_lo, 0, v1
	v_cndmask_b32_e64 v1, 0, 1, vcc_lo
	global_store_b32 v0, v1, s[0:1] scale_offset
	s_endpgm
	.section	.rodata,"a",@progbits
	.p2align	6, 0x0
	.amdhsa_kernel _Z34subtract_right_partial_tile_kernelIhbiN6hipcub3SumELj255ELj1EEvPKT_PiPT1_
		.amdhsa_group_segment_fixed_size 510
		.amdhsa_private_segment_fixed_size 0
		.amdhsa_kernarg_size 24
		.amdhsa_user_sgpr_count 2
		.amdhsa_user_sgpr_dispatch_ptr 0
		.amdhsa_user_sgpr_queue_ptr 0
		.amdhsa_user_sgpr_kernarg_segment_ptr 1
		.amdhsa_user_sgpr_dispatch_id 0
		.amdhsa_user_sgpr_kernarg_preload_length 0
		.amdhsa_user_sgpr_kernarg_preload_offset 0
		.amdhsa_user_sgpr_private_segment_size 0
		.amdhsa_wavefront_size32 1
		.amdhsa_uses_dynamic_stack 0
		.amdhsa_enable_private_segment 0
		.amdhsa_system_sgpr_workgroup_id_x 1
		.amdhsa_system_sgpr_workgroup_id_y 0
		.amdhsa_system_sgpr_workgroup_id_z 0
		.amdhsa_system_sgpr_workgroup_info 0
		.amdhsa_system_vgpr_workitem_id 0
		.amdhsa_next_free_vgpr 3
		.amdhsa_next_free_sgpr 9
		.amdhsa_named_barrier_count 0
		.amdhsa_reserve_vcc 1
		.amdhsa_float_round_mode_32 0
		.amdhsa_float_round_mode_16_64 0
		.amdhsa_float_denorm_mode_32 3
		.amdhsa_float_denorm_mode_16_64 3
		.amdhsa_fp16_overflow 0
		.amdhsa_memory_ordered 1
		.amdhsa_forward_progress 1
		.amdhsa_inst_pref_size 2
		.amdhsa_round_robin_scheduling 0
		.amdhsa_exception_fp_ieee_invalid_op 0
		.amdhsa_exception_fp_denorm_src 0
		.amdhsa_exception_fp_ieee_div_zero 0
		.amdhsa_exception_fp_ieee_overflow 0
		.amdhsa_exception_fp_ieee_underflow 0
		.amdhsa_exception_fp_ieee_inexact 0
		.amdhsa_exception_int_div_zero 0
	.end_amdhsa_kernel
	.section	.text._Z34subtract_right_partial_tile_kernelIhbiN6hipcub3SumELj255ELj1EEvPKT_PiPT1_,"axG",@progbits,_Z34subtract_right_partial_tile_kernelIhbiN6hipcub3SumELj255ELj1EEvPKT_PiPT1_,comdat
.Lfunc_end134:
	.size	_Z34subtract_right_partial_tile_kernelIhbiN6hipcub3SumELj255ELj1EEvPKT_PiPT1_, .Lfunc_end134-_Z34subtract_right_partial_tile_kernelIhbiN6hipcub3SumELj255ELj1EEvPKT_PiPT1_
                                        ; -- End function
	.set _Z34subtract_right_partial_tile_kernelIhbiN6hipcub3SumELj255ELj1EEvPKT_PiPT1_.num_vgpr, 3
	.set _Z34subtract_right_partial_tile_kernelIhbiN6hipcub3SumELj255ELj1EEvPKT_PiPT1_.num_agpr, 0
	.set _Z34subtract_right_partial_tile_kernelIhbiN6hipcub3SumELj255ELj1EEvPKT_PiPT1_.numbered_sgpr, 9
	.set _Z34subtract_right_partial_tile_kernelIhbiN6hipcub3SumELj255ELj1EEvPKT_PiPT1_.num_named_barrier, 0
	.set _Z34subtract_right_partial_tile_kernelIhbiN6hipcub3SumELj255ELj1EEvPKT_PiPT1_.private_seg_size, 0
	.set _Z34subtract_right_partial_tile_kernelIhbiN6hipcub3SumELj255ELj1EEvPKT_PiPT1_.uses_vcc, 1
	.set _Z34subtract_right_partial_tile_kernelIhbiN6hipcub3SumELj255ELj1EEvPKT_PiPT1_.uses_flat_scratch, 0
	.set _Z34subtract_right_partial_tile_kernelIhbiN6hipcub3SumELj255ELj1EEvPKT_PiPT1_.has_dyn_sized_stack, 0
	.set _Z34subtract_right_partial_tile_kernelIhbiN6hipcub3SumELj255ELj1EEvPKT_PiPT1_.has_recursion, 0
	.set _Z34subtract_right_partial_tile_kernelIhbiN6hipcub3SumELj255ELj1EEvPKT_PiPT1_.has_indirect_call, 0
	.section	.AMDGPU.csdata,"",@progbits
; Kernel info:
; codeLenInByte = 216
; TotalNumSgprs: 11
; NumVgprs: 3
; ScratchSize: 0
; MemoryBound: 0
; FloatMode: 240
; IeeeMode: 1
; LDSByteSize: 510 bytes/workgroup (compile time only)
; SGPRBlocks: 0
; VGPRBlocks: 0
; NumSGPRsForWavesPerEU: 11
; NumVGPRsForWavesPerEU: 3
; NamedBarCnt: 0
; Occupancy: 16
; WaveLimiterHint : 0
; COMPUTE_PGM_RSRC2:SCRATCH_EN: 0
; COMPUTE_PGM_RSRC2:USER_SGPR: 2
; COMPUTE_PGM_RSRC2:TRAP_HANDLER: 0
; COMPUTE_PGM_RSRC2:TGID_X_EN: 1
; COMPUTE_PGM_RSRC2:TGID_Y_EN: 0
; COMPUTE_PGM_RSRC2:TGID_Z_EN: 0
; COMPUTE_PGM_RSRC2:TIDIG_COMP_CNT: 0
	.section	.text._Z34subtract_right_partial_tile_kernelIjxx10custom_op2Lj162ELj1EEvPKT_PiPT1_,"axG",@progbits,_Z34subtract_right_partial_tile_kernelIjxx10custom_op2Lj162ELj1EEvPKT_PiPT1_,comdat
	.protected	_Z34subtract_right_partial_tile_kernelIjxx10custom_op2Lj162ELj1EEvPKT_PiPT1_ ; -- Begin function _Z34subtract_right_partial_tile_kernelIjxx10custom_op2Lj162ELj1EEvPKT_PiPT1_
	.globl	_Z34subtract_right_partial_tile_kernelIjxx10custom_op2Lj162ELj1EEvPKT_PiPT1_
	.p2align	8
	.type	_Z34subtract_right_partial_tile_kernelIjxx10custom_op2Lj162ELj1EEvPKT_PiPT1_,@function
_Z34subtract_right_partial_tile_kernelIjxx10custom_op2Lj162ELj1EEvPKT_PiPT1_: ; @_Z34subtract_right_partial_tile_kernelIjxx10custom_op2Lj162ELj1EEvPKT_PiPT1_
; %bb.0:
	s_load_b128 s[4:7], s[0:1], 0x0
	s_bfe_u32 s2, ttmp6, 0x4000c
	s_and_b32 s3, ttmp6, 15
	s_add_co_i32 s2, s2, 1
	s_getreg_b32 s8, hwreg(HW_REG_IB_STS2, 6, 4)
	s_mul_i32 s2, ttmp9, s2
	s_wait_xcnt 0x0
	s_load_b64 s[0:1], s[0:1], 0x10
	s_add_co_i32 s3, s3, s2
	s_cmp_eq_u32 s8, 0
	v_dual_add_nc_u32 v4, 1, v0 :: v_dual_lshlrev_b32 v1, 2, v0
	s_cselect_b32 s10, ttmp9, s3
	s_mov_b32 s3, 0
	s_mul_i32 s2, s10, 0xa2
	v_mov_b32_e32 v3, 0
	s_lshl_b64 s[8:9], s[2:3], 2
	s_wait_kmcnt 0x0
	s_add_nc_u64 s[4:5], s[4:5], s[8:9]
	global_load_b32 v2, v0, s[4:5] scale_offset
	s_wait_xcnt 0x0
	s_load_b32 s4, s[6:7], s10 offset:0x0 scale_offset
	s_wait_kmcnt 0x0
	v_cmp_gt_u32_e32 vcc_lo, s4, v4
	s_wait_loadcnt 0x0
	ds_store_b32 v1, v2 offset:648
	s_wait_dscnt 0x0
	s_barrier_signal -1
	s_barrier_wait -1
	s_and_saveexec_b32 s4, vcc_lo
	s_cbranch_execz .LBB135_2
; %bb.1:
	ds_load_b32 v1, v1 offset:652
	s_wait_dscnt 0x0
	v_lshlrev_b32_e32 v1, 1, v1
	s_delay_alu instid0(VALU_DEP_1)
	v_sub_nc_u32_e32 v2, v1, v2
.LBB135_2:
	s_or_b32 exec_lo, exec_lo, s4
	s_lshl_b64 s[2:3], s[2:3], 3
	s_delay_alu instid0(SALU_CYCLE_1)
	s_add_nc_u64 s[0:1], s[0:1], s[2:3]
	global_store_b64 v0, v[2:3], s[0:1] scale_offset
	s_endpgm
	.section	.rodata,"a",@progbits
	.p2align	6, 0x0
	.amdhsa_kernel _Z34subtract_right_partial_tile_kernelIjxx10custom_op2Lj162ELj1EEvPKT_PiPT1_
		.amdhsa_group_segment_fixed_size 1296
		.amdhsa_private_segment_fixed_size 0
		.amdhsa_kernarg_size 24
		.amdhsa_user_sgpr_count 2
		.amdhsa_user_sgpr_dispatch_ptr 0
		.amdhsa_user_sgpr_queue_ptr 0
		.amdhsa_user_sgpr_kernarg_segment_ptr 1
		.amdhsa_user_sgpr_dispatch_id 0
		.amdhsa_user_sgpr_kernarg_preload_length 0
		.amdhsa_user_sgpr_kernarg_preload_offset 0
		.amdhsa_user_sgpr_private_segment_size 0
		.amdhsa_wavefront_size32 1
		.amdhsa_uses_dynamic_stack 0
		.amdhsa_enable_private_segment 0
		.amdhsa_system_sgpr_workgroup_id_x 1
		.amdhsa_system_sgpr_workgroup_id_y 0
		.amdhsa_system_sgpr_workgroup_id_z 0
		.amdhsa_system_sgpr_workgroup_info 0
		.amdhsa_system_vgpr_workitem_id 0
		.amdhsa_next_free_vgpr 5
		.amdhsa_next_free_sgpr 11
		.amdhsa_named_barrier_count 0
		.amdhsa_reserve_vcc 1
		.amdhsa_float_round_mode_32 0
		.amdhsa_float_round_mode_16_64 0
		.amdhsa_float_denorm_mode_32 3
		.amdhsa_float_denorm_mode_16_64 3
		.amdhsa_fp16_overflow 0
		.amdhsa_memory_ordered 1
		.amdhsa_forward_progress 1
		.amdhsa_inst_pref_size 2
		.amdhsa_round_robin_scheduling 0
		.amdhsa_exception_fp_ieee_invalid_op 0
		.amdhsa_exception_fp_denorm_src 0
		.amdhsa_exception_fp_ieee_div_zero 0
		.amdhsa_exception_fp_ieee_overflow 0
		.amdhsa_exception_fp_ieee_underflow 0
		.amdhsa_exception_fp_ieee_inexact 0
		.amdhsa_exception_int_div_zero 0
	.end_amdhsa_kernel
	.section	.text._Z34subtract_right_partial_tile_kernelIjxx10custom_op2Lj162ELj1EEvPKT_PiPT1_,"axG",@progbits,_Z34subtract_right_partial_tile_kernelIjxx10custom_op2Lj162ELj1EEvPKT_PiPT1_,comdat
.Lfunc_end135:
	.size	_Z34subtract_right_partial_tile_kernelIjxx10custom_op2Lj162ELj1EEvPKT_PiPT1_, .Lfunc_end135-_Z34subtract_right_partial_tile_kernelIjxx10custom_op2Lj162ELj1EEvPKT_PiPT1_
                                        ; -- End function
	.set _Z34subtract_right_partial_tile_kernelIjxx10custom_op2Lj162ELj1EEvPKT_PiPT1_.num_vgpr, 5
	.set _Z34subtract_right_partial_tile_kernelIjxx10custom_op2Lj162ELj1EEvPKT_PiPT1_.num_agpr, 0
	.set _Z34subtract_right_partial_tile_kernelIjxx10custom_op2Lj162ELj1EEvPKT_PiPT1_.numbered_sgpr, 11
	.set _Z34subtract_right_partial_tile_kernelIjxx10custom_op2Lj162ELj1EEvPKT_PiPT1_.num_named_barrier, 0
	.set _Z34subtract_right_partial_tile_kernelIjxx10custom_op2Lj162ELj1EEvPKT_PiPT1_.private_seg_size, 0
	.set _Z34subtract_right_partial_tile_kernelIjxx10custom_op2Lj162ELj1EEvPKT_PiPT1_.uses_vcc, 1
	.set _Z34subtract_right_partial_tile_kernelIjxx10custom_op2Lj162ELj1EEvPKT_PiPT1_.uses_flat_scratch, 0
	.set _Z34subtract_right_partial_tile_kernelIjxx10custom_op2Lj162ELj1EEvPKT_PiPT1_.has_dyn_sized_stack, 0
	.set _Z34subtract_right_partial_tile_kernelIjxx10custom_op2Lj162ELj1EEvPKT_PiPT1_.has_recursion, 0
	.set _Z34subtract_right_partial_tile_kernelIjxx10custom_op2Lj162ELj1EEvPKT_PiPT1_.has_indirect_call, 0
	.section	.AMDGPU.csdata,"",@progbits
; Kernel info:
; codeLenInByte = 216
; TotalNumSgprs: 13
; NumVgprs: 5
; ScratchSize: 0
; MemoryBound: 0
; FloatMode: 240
; IeeeMode: 1
; LDSByteSize: 1296 bytes/workgroup (compile time only)
; SGPRBlocks: 0
; VGPRBlocks: 0
; NumSGPRsForWavesPerEU: 13
; NumVGPRsForWavesPerEU: 5
; NamedBarCnt: 0
; Occupancy: 16
; WaveLimiterHint : 0
; COMPUTE_PGM_RSRC2:SCRATCH_EN: 0
; COMPUTE_PGM_RSRC2:USER_SGPR: 2
; COMPUTE_PGM_RSRC2:TRAP_HANDLER: 0
; COMPUTE_PGM_RSRC2:TGID_X_EN: 1
; COMPUTE_PGM_RSRC2:TGID_Y_EN: 0
; COMPUTE_PGM_RSRC2:TGID_Z_EN: 0
; COMPUTE_PGM_RSRC2:TIDIG_COMP_CNT: 0
	.section	.text._Z34subtract_right_partial_tile_kernelIxcc10custom_op1Lj510ELj1EEvPKT_PiPT1_,"axG",@progbits,_Z34subtract_right_partial_tile_kernelIxcc10custom_op1Lj510ELj1EEvPKT_PiPT1_,comdat
	.protected	_Z34subtract_right_partial_tile_kernelIxcc10custom_op1Lj510ELj1EEvPKT_PiPT1_ ; -- Begin function _Z34subtract_right_partial_tile_kernelIxcc10custom_op1Lj510ELj1EEvPKT_PiPT1_
	.globl	_Z34subtract_right_partial_tile_kernelIxcc10custom_op1Lj510ELj1EEvPKT_PiPT1_
	.p2align	8
	.type	_Z34subtract_right_partial_tile_kernelIxcc10custom_op1Lj510ELj1EEvPKT_PiPT1_,@function
_Z34subtract_right_partial_tile_kernelIxcc10custom_op1Lj510ELj1EEvPKT_PiPT1_: ; @_Z34subtract_right_partial_tile_kernelIxcc10custom_op1Lj510ELj1EEvPKT_PiPT1_
; %bb.0:
	s_load_b128 s[4:7], s[0:1], 0x0
	s_bfe_u32 s2, ttmp6, 0x4000c
	s_and_b32 s3, ttmp6, 15
	s_add_co_i32 s2, s2, 1
	s_getreg_b32 s8, hwreg(HW_REG_IB_STS2, 6, 4)
	s_mul_i32 s2, ttmp9, s2
	s_wait_xcnt 0x0
	s_load_b64 s[0:1], s[0:1], 0x10
	s_add_co_i32 s3, s3, s2
	s_cmp_eq_u32 s8, 0
	v_dual_add_nc_u32 v5, 1, v0 :: v_dual_lshlrev_b32 v4, 3, v0
	s_cselect_b32 s10, ttmp9, s3
	s_mov_b32 s3, 0
	s_mul_i32 s2, s10, 0x1fe
	v_mov_b32_e32 v1, 0
	s_lshl_b64 s[8:9], s[2:3], 3
	s_wait_kmcnt 0x0
	s_add_nc_u64 s[4:5], s[4:5], s[8:9]
	global_load_b64 v[2:3], v0, s[4:5] scale_offset
	s_wait_xcnt 0x0
	s_load_b32 s4, s[6:7], s10 offset:0x0 scale_offset
	s_wait_kmcnt 0x0
	v_cmp_gt_u32_e32 vcc_lo, s4, v5
	s_wait_loadcnt 0x0
	ds_store_b64 v4, v[2:3] offset:4080
	s_wait_dscnt 0x0
	s_barrier_signal -1
	s_barrier_wait -1
	s_and_saveexec_b32 s4, vcc_lo
	s_cbranch_execz .LBB136_2
; %bb.1:
	ds_load_b64 v[4:5], v4 offset:4088
	s_wait_dscnt 0x0
	v_sub_nc_u64_e32 v[2:3], v[2:3], v[4:5]
.LBB136_2:
	s_or_b32 exec_lo, exec_lo, s4
	s_add_nc_u64 s[0:1], s[0:1], s[2:3]
	s_delay_alu instid0(SALU_CYCLE_1)
	v_add_nc_u64_e32 v[0:1], s[0:1], v[0:1]
	global_store_b8 v[0:1], v2, off
	s_endpgm
	.section	.rodata,"a",@progbits
	.p2align	6, 0x0
	.amdhsa_kernel _Z34subtract_right_partial_tile_kernelIxcc10custom_op1Lj510ELj1EEvPKT_PiPT1_
		.amdhsa_group_segment_fixed_size 8160
		.amdhsa_private_segment_fixed_size 0
		.amdhsa_kernarg_size 24
		.amdhsa_user_sgpr_count 2
		.amdhsa_user_sgpr_dispatch_ptr 0
		.amdhsa_user_sgpr_queue_ptr 0
		.amdhsa_user_sgpr_kernarg_segment_ptr 1
		.amdhsa_user_sgpr_dispatch_id 0
		.amdhsa_user_sgpr_kernarg_preload_length 0
		.amdhsa_user_sgpr_kernarg_preload_offset 0
		.amdhsa_user_sgpr_private_segment_size 0
		.amdhsa_wavefront_size32 1
		.amdhsa_uses_dynamic_stack 0
		.amdhsa_enable_private_segment 0
		.amdhsa_system_sgpr_workgroup_id_x 1
		.amdhsa_system_sgpr_workgroup_id_y 0
		.amdhsa_system_sgpr_workgroup_id_z 0
		.amdhsa_system_sgpr_workgroup_info 0
		.amdhsa_system_vgpr_workitem_id 0
		.amdhsa_next_free_vgpr 6
		.amdhsa_next_free_sgpr 11
		.amdhsa_named_barrier_count 0
		.amdhsa_reserve_vcc 1
		.amdhsa_float_round_mode_32 0
		.amdhsa_float_round_mode_16_64 0
		.amdhsa_float_denorm_mode_32 3
		.amdhsa_float_denorm_mode_16_64 3
		.amdhsa_fp16_overflow 0
		.amdhsa_memory_ordered 1
		.amdhsa_forward_progress 1
		.amdhsa_inst_pref_size 2
		.amdhsa_round_robin_scheduling 0
		.amdhsa_exception_fp_ieee_invalid_op 0
		.amdhsa_exception_fp_denorm_src 0
		.amdhsa_exception_fp_ieee_div_zero 0
		.amdhsa_exception_fp_ieee_overflow 0
		.amdhsa_exception_fp_ieee_underflow 0
		.amdhsa_exception_fp_ieee_inexact 0
		.amdhsa_exception_int_div_zero 0
	.end_amdhsa_kernel
	.section	.text._Z34subtract_right_partial_tile_kernelIxcc10custom_op1Lj510ELj1EEvPKT_PiPT1_,"axG",@progbits,_Z34subtract_right_partial_tile_kernelIxcc10custom_op1Lj510ELj1EEvPKT_PiPT1_,comdat
.Lfunc_end136:
	.size	_Z34subtract_right_partial_tile_kernelIxcc10custom_op1Lj510ELj1EEvPKT_PiPT1_, .Lfunc_end136-_Z34subtract_right_partial_tile_kernelIxcc10custom_op1Lj510ELj1EEvPKT_PiPT1_
                                        ; -- End function
	.set _Z34subtract_right_partial_tile_kernelIxcc10custom_op1Lj510ELj1EEvPKT_PiPT1_.num_vgpr, 6
	.set _Z34subtract_right_partial_tile_kernelIxcc10custom_op1Lj510ELj1EEvPKT_PiPT1_.num_agpr, 0
	.set _Z34subtract_right_partial_tile_kernelIxcc10custom_op1Lj510ELj1EEvPKT_PiPT1_.numbered_sgpr, 11
	.set _Z34subtract_right_partial_tile_kernelIxcc10custom_op1Lj510ELj1EEvPKT_PiPT1_.num_named_barrier, 0
	.set _Z34subtract_right_partial_tile_kernelIxcc10custom_op1Lj510ELj1EEvPKT_PiPT1_.private_seg_size, 0
	.set _Z34subtract_right_partial_tile_kernelIxcc10custom_op1Lj510ELj1EEvPKT_PiPT1_.uses_vcc, 1
	.set _Z34subtract_right_partial_tile_kernelIxcc10custom_op1Lj510ELj1EEvPKT_PiPT1_.uses_flat_scratch, 0
	.set _Z34subtract_right_partial_tile_kernelIxcc10custom_op1Lj510ELj1EEvPKT_PiPT1_.has_dyn_sized_stack, 0
	.set _Z34subtract_right_partial_tile_kernelIxcc10custom_op1Lj510ELj1EEvPKT_PiPT1_.has_recursion, 0
	.set _Z34subtract_right_partial_tile_kernelIxcc10custom_op1Lj510ELj1EEvPKT_PiPT1_.has_indirect_call, 0
	.section	.AMDGPU.csdata,"",@progbits
; Kernel info:
; codeLenInByte = 208
; TotalNumSgprs: 13
; NumVgprs: 6
; ScratchSize: 0
; MemoryBound: 0
; FloatMode: 240
; IeeeMode: 1
; LDSByteSize: 8160 bytes/workgroup (compile time only)
; SGPRBlocks: 0
; VGPRBlocks: 0
; NumSGPRsForWavesPerEU: 13
; NumVGPRsForWavesPerEU: 6
; NamedBarCnt: 0
; Occupancy: 16
; WaveLimiterHint : 0
; COMPUTE_PGM_RSRC2:SCRATCH_EN: 0
; COMPUTE_PGM_RSRC2:USER_SGPR: 2
; COMPUTE_PGM_RSRC2:TRAP_HANDLER: 0
; COMPUTE_PGM_RSRC2:TGID_X_EN: 1
; COMPUTE_PGM_RSRC2:TGID_Y_EN: 0
; COMPUTE_PGM_RSRC2:TGID_Z_EN: 0
; COMPUTE_PGM_RSRC2:TIDIG_COMP_CNT: 0
	.section	.text._Z34subtract_right_partial_tile_kernelIfiiN6hipcub3SumELj37ELj1EEvPKT_PiPT1_,"axG",@progbits,_Z34subtract_right_partial_tile_kernelIfiiN6hipcub3SumELj37ELj1EEvPKT_PiPT1_,comdat
	.protected	_Z34subtract_right_partial_tile_kernelIfiiN6hipcub3SumELj37ELj1EEvPKT_PiPT1_ ; -- Begin function _Z34subtract_right_partial_tile_kernelIfiiN6hipcub3SumELj37ELj1EEvPKT_PiPT1_
	.globl	_Z34subtract_right_partial_tile_kernelIfiiN6hipcub3SumELj37ELj1EEvPKT_PiPT1_
	.p2align	8
	.type	_Z34subtract_right_partial_tile_kernelIfiiN6hipcub3SumELj37ELj1EEvPKT_PiPT1_,@function
_Z34subtract_right_partial_tile_kernelIfiiN6hipcub3SumELj37ELj1EEvPKT_PiPT1_: ; @_Z34subtract_right_partial_tile_kernelIfiiN6hipcub3SumELj37ELj1EEvPKT_PiPT1_
; %bb.0:
	s_load_b128 s[4:7], s[0:1], 0x0
	s_bfe_u32 s2, ttmp6, 0x4000c
	s_and_b32 s3, ttmp6, 15
	s_add_co_i32 s2, s2, 1
	s_getreg_b32 s8, hwreg(HW_REG_IB_STS2, 6, 4)
	s_mul_i32 s2, ttmp9, s2
	s_wait_xcnt 0x0
	s_load_b64 s[0:1], s[0:1], 0x10
	s_add_co_i32 s3, s3, s2
	s_cmp_eq_u32 s8, 0
	v_dual_add_nc_u32 v3, 1, v0 :: v_dual_lshlrev_b32 v2, 2, v0
	s_cselect_b32 s8, ttmp9, s3
	s_mov_b32 s3, 0
	s_mul_i32 s2, s8, 37
	s_delay_alu instid0(SALU_CYCLE_1)
	s_lshl_b64 s[2:3], s[2:3], 2
	s_wait_kmcnt 0x0
	s_add_nc_u64 s[4:5], s[4:5], s[2:3]
	global_load_b32 v1, v0, s[4:5] scale_offset
	s_wait_xcnt 0x0
	s_load_b32 s4, s[6:7], s8 offset:0x0 scale_offset
	s_wait_kmcnt 0x0
	v_cmp_gt_u32_e32 vcc_lo, s4, v3
	s_wait_loadcnt 0x0
	ds_store_b32 v2, v1 offset:148
	s_wait_dscnt 0x0
	s_barrier_signal -1
	s_barrier_wait -1
	s_and_saveexec_b32 s4, vcc_lo
	s_cbranch_execz .LBB137_2
; %bb.1:
	ds_load_b32 v2, v2 offset:152
	s_wait_dscnt 0x0
	v_add_f32_e32 v1, v1, v2
.LBB137_2:
	s_or_b32 exec_lo, exec_lo, s4
	s_delay_alu instid0(VALU_DEP_1)
	v_cvt_i32_f32_e32 v1, v1
	s_add_nc_u64 s[0:1], s[0:1], s[2:3]
	global_store_b32 v0, v1, s[0:1] scale_offset
	s_endpgm
	.section	.rodata,"a",@progbits
	.p2align	6, 0x0
	.amdhsa_kernel _Z34subtract_right_partial_tile_kernelIfiiN6hipcub3SumELj37ELj1EEvPKT_PiPT1_
		.amdhsa_group_segment_fixed_size 296
		.amdhsa_private_segment_fixed_size 0
		.amdhsa_kernarg_size 24
		.amdhsa_user_sgpr_count 2
		.amdhsa_user_sgpr_dispatch_ptr 0
		.amdhsa_user_sgpr_queue_ptr 0
		.amdhsa_user_sgpr_kernarg_segment_ptr 1
		.amdhsa_user_sgpr_dispatch_id 0
		.amdhsa_user_sgpr_kernarg_preload_length 0
		.amdhsa_user_sgpr_kernarg_preload_offset 0
		.amdhsa_user_sgpr_private_segment_size 0
		.amdhsa_wavefront_size32 1
		.amdhsa_uses_dynamic_stack 0
		.amdhsa_enable_private_segment 0
		.amdhsa_system_sgpr_workgroup_id_x 1
		.amdhsa_system_sgpr_workgroup_id_y 0
		.amdhsa_system_sgpr_workgroup_id_z 0
		.amdhsa_system_sgpr_workgroup_info 0
		.amdhsa_system_vgpr_workitem_id 0
		.amdhsa_next_free_vgpr 4
		.amdhsa_next_free_sgpr 9
		.amdhsa_named_barrier_count 0
		.amdhsa_reserve_vcc 1
		.amdhsa_float_round_mode_32 0
		.amdhsa_float_round_mode_16_64 0
		.amdhsa_float_denorm_mode_32 3
		.amdhsa_float_denorm_mode_16_64 3
		.amdhsa_fp16_overflow 0
		.amdhsa_memory_ordered 1
		.amdhsa_forward_progress 1
		.amdhsa_inst_pref_size 2
		.amdhsa_round_robin_scheduling 0
		.amdhsa_exception_fp_ieee_invalid_op 0
		.amdhsa_exception_fp_denorm_src 0
		.amdhsa_exception_fp_ieee_div_zero 0
		.amdhsa_exception_fp_ieee_overflow 0
		.amdhsa_exception_fp_ieee_underflow 0
		.amdhsa_exception_fp_ieee_inexact 0
		.amdhsa_exception_int_div_zero 0
	.end_amdhsa_kernel
	.section	.text._Z34subtract_right_partial_tile_kernelIfiiN6hipcub3SumELj37ELj1EEvPKT_PiPT1_,"axG",@progbits,_Z34subtract_right_partial_tile_kernelIfiiN6hipcub3SumELj37ELj1EEvPKT_PiPT1_,comdat
.Lfunc_end137:
	.size	_Z34subtract_right_partial_tile_kernelIfiiN6hipcub3SumELj37ELj1EEvPKT_PiPT1_, .Lfunc_end137-_Z34subtract_right_partial_tile_kernelIfiiN6hipcub3SumELj37ELj1EEvPKT_PiPT1_
                                        ; -- End function
	.set _Z34subtract_right_partial_tile_kernelIfiiN6hipcub3SumELj37ELj1EEvPKT_PiPT1_.num_vgpr, 4
	.set _Z34subtract_right_partial_tile_kernelIfiiN6hipcub3SumELj37ELj1EEvPKT_PiPT1_.num_agpr, 0
	.set _Z34subtract_right_partial_tile_kernelIfiiN6hipcub3SumELj37ELj1EEvPKT_PiPT1_.numbered_sgpr, 9
	.set _Z34subtract_right_partial_tile_kernelIfiiN6hipcub3SumELj37ELj1EEvPKT_PiPT1_.num_named_barrier, 0
	.set _Z34subtract_right_partial_tile_kernelIfiiN6hipcub3SumELj37ELj1EEvPKT_PiPT1_.private_seg_size, 0
	.set _Z34subtract_right_partial_tile_kernelIfiiN6hipcub3SumELj37ELj1EEvPKT_PiPT1_.uses_vcc, 1
	.set _Z34subtract_right_partial_tile_kernelIfiiN6hipcub3SumELj37ELj1EEvPKT_PiPT1_.uses_flat_scratch, 0
	.set _Z34subtract_right_partial_tile_kernelIfiiN6hipcub3SumELj37ELj1EEvPKT_PiPT1_.has_dyn_sized_stack, 0
	.set _Z34subtract_right_partial_tile_kernelIfiiN6hipcub3SumELj37ELj1EEvPKT_PiPT1_.has_recursion, 0
	.set _Z34subtract_right_partial_tile_kernelIfiiN6hipcub3SumELj37ELj1EEvPKT_PiPT1_.has_indirect_call, 0
	.section	.AMDGPU.csdata,"",@progbits
; Kernel info:
; codeLenInByte = 204
; TotalNumSgprs: 11
; NumVgprs: 4
; ScratchSize: 0
; MemoryBound: 0
; FloatMode: 240
; IeeeMode: 1
; LDSByteSize: 296 bytes/workgroup (compile time only)
; SGPRBlocks: 0
; VGPRBlocks: 0
; NumSGPRsForWavesPerEU: 11
; NumVGPRsForWavesPerEU: 4
; NamedBarCnt: 0
; Occupancy: 16
; WaveLimiterHint : 0
; COMPUTE_PGM_RSRC2:SCRATCH_EN: 0
; COMPUTE_PGM_RSRC2:USER_SGPR: 2
; COMPUTE_PGM_RSRC2:TRAP_HANDLER: 0
; COMPUTE_PGM_RSRC2:TGID_X_EN: 1
; COMPUTE_PGM_RSRC2:TGID_Y_EN: 0
; COMPUTE_PGM_RSRC2:TGID_Z_EN: 0
; COMPUTE_PGM_RSRC2:TIDIG_COMP_CNT: 0
	.section	.text._Z34subtract_right_partial_tile_kernelIibi10custom_op1Lj256ELj1EEvPKT_PiPT1_,"axG",@progbits,_Z34subtract_right_partial_tile_kernelIibi10custom_op1Lj256ELj1EEvPKT_PiPT1_,comdat
	.protected	_Z34subtract_right_partial_tile_kernelIibi10custom_op1Lj256ELj1EEvPKT_PiPT1_ ; -- Begin function _Z34subtract_right_partial_tile_kernelIibi10custom_op1Lj256ELj1EEvPKT_PiPT1_
	.globl	_Z34subtract_right_partial_tile_kernelIibi10custom_op1Lj256ELj1EEvPKT_PiPT1_
	.p2align	8
	.type	_Z34subtract_right_partial_tile_kernelIibi10custom_op1Lj256ELj1EEvPKT_PiPT1_,@function
_Z34subtract_right_partial_tile_kernelIibi10custom_op1Lj256ELj1EEvPKT_PiPT1_: ; @_Z34subtract_right_partial_tile_kernelIibi10custom_op1Lj256ELj1EEvPKT_PiPT1_
; %bb.0:
	s_load_b128 s[4:7], s[0:1], 0x0
	s_bfe_u32 s2, ttmp6, 0x4000c
	s_and_b32 s3, ttmp6, 15
	s_add_co_i32 s2, s2, 1
	s_getreg_b32 s8, hwreg(HW_REG_IB_STS2, 6, 4)
	s_mul_i32 s2, ttmp9, s2
	s_wait_xcnt 0x0
	s_load_b64 s[0:1], s[0:1], 0x10
	s_add_co_i32 s3, s3, s2
	s_cmp_eq_u32 s8, 0
	v_dual_add_nc_u32 v4, 1, v0 :: v_dual_lshlrev_b32 v3, 2, v0
	s_cselect_b32 s8, ttmp9, s3
	s_mov_b32 s3, 0
	s_lshl_b32 s2, s8, 8
	v_mov_b32_e32 v2, 0
	s_lshl_b64 s[2:3], s[2:3], 2
	s_wait_kmcnt 0x0
	s_add_nc_u64 s[4:5], s[4:5], s[2:3]
	global_load_b32 v1, v0, s[4:5] scale_offset
	s_wait_xcnt 0x0
	s_load_b32 s4, s[6:7], s8 offset:0x0 scale_offset
	s_wait_kmcnt 0x0
	v_cmp_gt_u32_e32 vcc_lo, s4, v4
	s_wait_loadcnt 0x0
	ds_store_b32 v3, v1 offset:1024
	s_wait_dscnt 0x0
	s_barrier_signal -1
	s_barrier_wait -1
	s_and_saveexec_b32 s4, vcc_lo
; %bb.1:
	ds_load_b32 v2, v3 offset:1028
; %bb.2:
	s_or_b32 exec_lo, exec_lo, s4
	s_wait_dscnt 0x0
	v_cmp_ne_u32_e32 vcc_lo, v1, v2
	s_add_nc_u64 s[0:1], s[0:1], s[2:3]
	v_cndmask_b32_e64 v1, 0, 1, vcc_lo
	global_store_b32 v0, v1, s[0:1] scale_offset
	s_endpgm
	.section	.rodata,"a",@progbits
	.p2align	6, 0x0
	.amdhsa_kernel _Z34subtract_right_partial_tile_kernelIibi10custom_op1Lj256ELj1EEvPKT_PiPT1_
		.amdhsa_group_segment_fixed_size 2048
		.amdhsa_private_segment_fixed_size 0
		.amdhsa_kernarg_size 24
		.amdhsa_user_sgpr_count 2
		.amdhsa_user_sgpr_dispatch_ptr 0
		.amdhsa_user_sgpr_queue_ptr 0
		.amdhsa_user_sgpr_kernarg_segment_ptr 1
		.amdhsa_user_sgpr_dispatch_id 0
		.amdhsa_user_sgpr_kernarg_preload_length 0
		.amdhsa_user_sgpr_kernarg_preload_offset 0
		.amdhsa_user_sgpr_private_segment_size 0
		.amdhsa_wavefront_size32 1
		.amdhsa_uses_dynamic_stack 0
		.amdhsa_enable_private_segment 0
		.amdhsa_system_sgpr_workgroup_id_x 1
		.amdhsa_system_sgpr_workgroup_id_y 0
		.amdhsa_system_sgpr_workgroup_id_z 0
		.amdhsa_system_sgpr_workgroup_info 0
		.amdhsa_system_vgpr_workitem_id 0
		.amdhsa_next_free_vgpr 5
		.amdhsa_next_free_sgpr 9
		.amdhsa_named_barrier_count 0
		.amdhsa_reserve_vcc 1
		.amdhsa_float_round_mode_32 0
		.amdhsa_float_round_mode_16_64 0
		.amdhsa_float_denorm_mode_32 3
		.amdhsa_float_denorm_mode_16_64 3
		.amdhsa_fp16_overflow 0
		.amdhsa_memory_ordered 1
		.amdhsa_forward_progress 1
		.amdhsa_inst_pref_size 2
		.amdhsa_round_robin_scheduling 0
		.amdhsa_exception_fp_ieee_invalid_op 0
		.amdhsa_exception_fp_denorm_src 0
		.amdhsa_exception_fp_ieee_div_zero 0
		.amdhsa_exception_fp_ieee_overflow 0
		.amdhsa_exception_fp_ieee_underflow 0
		.amdhsa_exception_fp_ieee_inexact 0
		.amdhsa_exception_int_div_zero 0
	.end_amdhsa_kernel
	.section	.text._Z34subtract_right_partial_tile_kernelIibi10custom_op1Lj256ELj1EEvPKT_PiPT1_,"axG",@progbits,_Z34subtract_right_partial_tile_kernelIibi10custom_op1Lj256ELj1EEvPKT_PiPT1_,comdat
.Lfunc_end138:
	.size	_Z34subtract_right_partial_tile_kernelIibi10custom_op1Lj256ELj1EEvPKT_PiPT1_, .Lfunc_end138-_Z34subtract_right_partial_tile_kernelIibi10custom_op1Lj256ELj1EEvPKT_PiPT1_
                                        ; -- End function
	.set _Z34subtract_right_partial_tile_kernelIibi10custom_op1Lj256ELj1EEvPKT_PiPT1_.num_vgpr, 5
	.set _Z34subtract_right_partial_tile_kernelIibi10custom_op1Lj256ELj1EEvPKT_PiPT1_.num_agpr, 0
	.set _Z34subtract_right_partial_tile_kernelIibi10custom_op1Lj256ELj1EEvPKT_PiPT1_.numbered_sgpr, 9
	.set _Z34subtract_right_partial_tile_kernelIibi10custom_op1Lj256ELj1EEvPKT_PiPT1_.num_named_barrier, 0
	.set _Z34subtract_right_partial_tile_kernelIibi10custom_op1Lj256ELj1EEvPKT_PiPT1_.private_seg_size, 0
	.set _Z34subtract_right_partial_tile_kernelIibi10custom_op1Lj256ELj1EEvPKT_PiPT1_.uses_vcc, 1
	.set _Z34subtract_right_partial_tile_kernelIibi10custom_op1Lj256ELj1EEvPKT_PiPT1_.uses_flat_scratch, 0
	.set _Z34subtract_right_partial_tile_kernelIibi10custom_op1Lj256ELj1EEvPKT_PiPT1_.has_dyn_sized_stack, 0
	.set _Z34subtract_right_partial_tile_kernelIibi10custom_op1Lj256ELj1EEvPKT_PiPT1_.has_recursion, 0
	.set _Z34subtract_right_partial_tile_kernelIibi10custom_op1Lj256ELj1EEvPKT_PiPT1_.has_indirect_call, 0
	.section	.AMDGPU.csdata,"",@progbits
; Kernel info:
; codeLenInByte = 200
; TotalNumSgprs: 11
; NumVgprs: 5
; ScratchSize: 0
; MemoryBound: 0
; FloatMode: 240
; IeeeMode: 1
; LDSByteSize: 2048 bytes/workgroup (compile time only)
; SGPRBlocks: 0
; VGPRBlocks: 0
; NumSGPRsForWavesPerEU: 11
; NumVGPRsForWavesPerEU: 5
; NamedBarCnt: 0
; Occupancy: 16
; WaveLimiterHint : 0
; COMPUTE_PGM_RSRC2:SCRATCH_EN: 0
; COMPUTE_PGM_RSRC2:USER_SGPR: 2
; COMPUTE_PGM_RSRC2:TRAP_HANDLER: 0
; COMPUTE_PGM_RSRC2:TGID_X_EN: 1
; COMPUTE_PGM_RSRC2:TGID_Y_EN: 0
; COMPUTE_PGM_RSRC2:TGID_Z_EN: 0
; COMPUTE_PGM_RSRC2:TIDIG_COMP_CNT: 0
	.section	.text._Z34subtract_right_partial_tile_kernelI12hip_bfloat16ii10custom_op2Lj256ELj1EEvPKT_PiPT1_,"axG",@progbits,_Z34subtract_right_partial_tile_kernelI12hip_bfloat16ii10custom_op2Lj256ELj1EEvPKT_PiPT1_,comdat
	.protected	_Z34subtract_right_partial_tile_kernelI12hip_bfloat16ii10custom_op2Lj256ELj1EEvPKT_PiPT1_ ; -- Begin function _Z34subtract_right_partial_tile_kernelI12hip_bfloat16ii10custom_op2Lj256ELj1EEvPKT_PiPT1_
	.globl	_Z34subtract_right_partial_tile_kernelI12hip_bfloat16ii10custom_op2Lj256ELj1EEvPKT_PiPT1_
	.p2align	8
	.type	_Z34subtract_right_partial_tile_kernelI12hip_bfloat16ii10custom_op2Lj256ELj1EEvPKT_PiPT1_,@function
_Z34subtract_right_partial_tile_kernelI12hip_bfloat16ii10custom_op2Lj256ELj1EEvPKT_PiPT1_: ; @_Z34subtract_right_partial_tile_kernelI12hip_bfloat16ii10custom_op2Lj256ELj1EEvPKT_PiPT1_
; %bb.0:
	s_load_b128 s[4:7], s[0:1], 0x0
	s_bfe_u32 s2, ttmp6, 0x4000c
	s_and_b32 s3, ttmp6, 15
	s_add_co_i32 s2, s2, 1
	s_getreg_b32 s8, hwreg(HW_REG_IB_STS2, 6, 4)
	s_mul_i32 s2, ttmp9, s2
	s_wait_xcnt 0x0
	s_load_b64 s[0:1], s[0:1], 0x10
	s_add_co_i32 s3, s3, s2
	s_cmp_eq_u32 s8, 0
	v_dual_lshlrev_b32 v2, 1, v0 :: v_dual_add_nc_u32 v3, 1, v0
	s_cselect_b32 s10, ttmp9, s3
	s_mov_b32 s3, 0
	s_lshl_b32 s2, s10, 8
	s_delay_alu instid0(SALU_CYCLE_1)
	s_lshl_b64 s[8:9], s[2:3], 1
	s_wait_kmcnt 0x0
	s_add_nc_u64 s[4:5], s[4:5], s[8:9]
	global_load_u16 v1, v0, s[4:5] scale_offset
	s_wait_xcnt 0x0
	s_load_b32 s4, s[6:7], s10 offset:0x0 scale_offset
	s_wait_kmcnt 0x0
	v_cmp_gt_u32_e32 vcc_lo, s4, v3
	s_wait_loadcnt 0x0
	ds_store_b16 v2, v1 offset:512
	v_lshlrev_b32_e32 v1, 16, v1
	s_wait_dscnt 0x0
	s_barrier_signal -1
	s_barrier_wait -1
	s_and_saveexec_b32 s4, vcc_lo
	s_cbranch_execz .LBB139_10
; %bb.1:
	ds_load_u16 v2, v2 offset:514
	s_wait_dscnt 0x0
	v_lshlrev_b32_e32 v2, 16, v2
	s_delay_alu instid0(VALU_DEP_1) | instskip(NEXT) | instid1(VALU_DEP_1)
	v_add_f32_e32 v2, v2, v2
	v_and_b32_e32 v3, 0x7f800000, v2
	s_delay_alu instid0(VALU_DEP_1) | instskip(SKIP_1) | instid1(SALU_CYCLE_1)
	v_cmp_ne_u32_e32 vcc_lo, 0x7f800000, v3
                                        ; implicit-def: $vgpr3
	s_and_saveexec_b32 s5, vcc_lo
	s_xor_b32 s5, exec_lo, s5
; %bb.2:
	v_bfe_u32 v3, v2, 16, 1
	s_delay_alu instid0(VALU_DEP_1)
	v_add3_u32 v3, v2, v3, 0x7fff
                                        ; implicit-def: $vgpr2
; %bb.3:
	s_and_not1_saveexec_b32 s5, s5
; %bb.4:
	v_and_b32_e32 v3, 0xffff, v2
	v_or_b32_e32 v4, 0x10000, v2
	s_delay_alu instid0(VALU_DEP_2) | instskip(NEXT) | instid1(VALU_DEP_2)
	v_cmp_eq_u32_e32 vcc_lo, 0, v3
	v_cndmask_b32_e32 v3, v4, v2, vcc_lo
; %bb.5:
	s_or_b32 exec_lo, exec_lo, s5
	s_delay_alu instid0(VALU_DEP_1) | instskip(NEXT) | instid1(VALU_DEP_1)
	v_and_b32_e32 v2, 0xffff0000, v3
	v_sub_f32_e32 v1, v2, v1
	s_delay_alu instid0(VALU_DEP_1) | instskip(NEXT) | instid1(VALU_DEP_1)
	v_and_b32_e32 v2, 0x7f800000, v1
	v_cmp_ne_u32_e32 vcc_lo, 0x7f800000, v2
                                        ; implicit-def: $vgpr2
	s_and_saveexec_b32 s5, vcc_lo
	s_delay_alu instid0(SALU_CYCLE_1)
	s_xor_b32 s5, exec_lo, s5
; %bb.6:
	v_bfe_u32 v2, v1, 16, 1
	s_delay_alu instid0(VALU_DEP_1)
	v_add3_u32 v2, v1, v2, 0x7fff
                                        ; implicit-def: $vgpr1
; %bb.7:
	s_and_not1_saveexec_b32 s5, s5
; %bb.8:
	v_and_b32_e32 v2, 0xffff, v1
	v_or_b32_e32 v3, 0x10000, v1
	s_delay_alu instid0(VALU_DEP_2) | instskip(NEXT) | instid1(VALU_DEP_2)
	v_cmp_eq_u32_e32 vcc_lo, 0, v2
	v_cndmask_b32_e32 v2, v3, v1, vcc_lo
; %bb.9:
	s_or_b32 exec_lo, exec_lo, s5
	s_delay_alu instid0(VALU_DEP_1)
	v_and_b32_e32 v1, 0xffff0000, v2
.LBB139_10:
	s_or_b32 exec_lo, exec_lo, s4
	s_delay_alu instid0(VALU_DEP_1) | instskip(SKIP_1) | instid1(SALU_CYCLE_1)
	v_cvt_i32_f32_e32 v1, v1
	s_lshl_b64 s[2:3], s[2:3], 2
	s_add_nc_u64 s[0:1], s[0:1], s[2:3]
	global_store_b32 v0, v1, s[0:1] scale_offset
	s_endpgm
	.section	.rodata,"a",@progbits
	.p2align	6, 0x0
	.amdhsa_kernel _Z34subtract_right_partial_tile_kernelI12hip_bfloat16ii10custom_op2Lj256ELj1EEvPKT_PiPT1_
		.amdhsa_group_segment_fixed_size 1024
		.amdhsa_private_segment_fixed_size 0
		.amdhsa_kernarg_size 24
		.amdhsa_user_sgpr_count 2
		.amdhsa_user_sgpr_dispatch_ptr 0
		.amdhsa_user_sgpr_queue_ptr 0
		.amdhsa_user_sgpr_kernarg_segment_ptr 1
		.amdhsa_user_sgpr_dispatch_id 0
		.amdhsa_user_sgpr_kernarg_preload_length 0
		.amdhsa_user_sgpr_kernarg_preload_offset 0
		.amdhsa_user_sgpr_private_segment_size 0
		.amdhsa_wavefront_size32 1
		.amdhsa_uses_dynamic_stack 0
		.amdhsa_enable_private_segment 0
		.amdhsa_system_sgpr_workgroup_id_x 1
		.amdhsa_system_sgpr_workgroup_id_y 0
		.amdhsa_system_sgpr_workgroup_id_z 0
		.amdhsa_system_sgpr_workgroup_info 0
		.amdhsa_system_vgpr_workitem_id 0
		.amdhsa_next_free_vgpr 5
		.amdhsa_next_free_sgpr 11
		.amdhsa_named_barrier_count 0
		.amdhsa_reserve_vcc 1
		.amdhsa_float_round_mode_32 0
		.amdhsa_float_round_mode_16_64 0
		.amdhsa_float_denorm_mode_32 3
		.amdhsa_float_denorm_mode_16_64 3
		.amdhsa_fp16_overflow 0
		.amdhsa_memory_ordered 1
		.amdhsa_forward_progress 1
		.amdhsa_inst_pref_size 4
		.amdhsa_round_robin_scheduling 0
		.amdhsa_exception_fp_ieee_invalid_op 0
		.amdhsa_exception_fp_denorm_src 0
		.amdhsa_exception_fp_ieee_div_zero 0
		.amdhsa_exception_fp_ieee_overflow 0
		.amdhsa_exception_fp_ieee_underflow 0
		.amdhsa_exception_fp_ieee_inexact 0
		.amdhsa_exception_int_div_zero 0
	.end_amdhsa_kernel
	.section	.text._Z34subtract_right_partial_tile_kernelI12hip_bfloat16ii10custom_op2Lj256ELj1EEvPKT_PiPT1_,"axG",@progbits,_Z34subtract_right_partial_tile_kernelI12hip_bfloat16ii10custom_op2Lj256ELj1EEvPKT_PiPT1_,comdat
.Lfunc_end139:
	.size	_Z34subtract_right_partial_tile_kernelI12hip_bfloat16ii10custom_op2Lj256ELj1EEvPKT_PiPT1_, .Lfunc_end139-_Z34subtract_right_partial_tile_kernelI12hip_bfloat16ii10custom_op2Lj256ELj1EEvPKT_PiPT1_
                                        ; -- End function
	.set _Z34subtract_right_partial_tile_kernelI12hip_bfloat16ii10custom_op2Lj256ELj1EEvPKT_PiPT1_.num_vgpr, 5
	.set _Z34subtract_right_partial_tile_kernelI12hip_bfloat16ii10custom_op2Lj256ELj1EEvPKT_PiPT1_.num_agpr, 0
	.set _Z34subtract_right_partial_tile_kernelI12hip_bfloat16ii10custom_op2Lj256ELj1EEvPKT_PiPT1_.numbered_sgpr, 11
	.set _Z34subtract_right_partial_tile_kernelI12hip_bfloat16ii10custom_op2Lj256ELj1EEvPKT_PiPT1_.num_named_barrier, 0
	.set _Z34subtract_right_partial_tile_kernelI12hip_bfloat16ii10custom_op2Lj256ELj1EEvPKT_PiPT1_.private_seg_size, 0
	.set _Z34subtract_right_partial_tile_kernelI12hip_bfloat16ii10custom_op2Lj256ELj1EEvPKT_PiPT1_.uses_vcc, 1
	.set _Z34subtract_right_partial_tile_kernelI12hip_bfloat16ii10custom_op2Lj256ELj1EEvPKT_PiPT1_.uses_flat_scratch, 0
	.set _Z34subtract_right_partial_tile_kernelI12hip_bfloat16ii10custom_op2Lj256ELj1EEvPKT_PiPT1_.has_dyn_sized_stack, 0
	.set _Z34subtract_right_partial_tile_kernelI12hip_bfloat16ii10custom_op2Lj256ELj1EEvPKT_PiPT1_.has_recursion, 0
	.set _Z34subtract_right_partial_tile_kernelI12hip_bfloat16ii10custom_op2Lj256ELj1EEvPKT_PiPT1_.has_indirect_call, 0
	.section	.AMDGPU.csdata,"",@progbits
; Kernel info:
; codeLenInByte = 428
; TotalNumSgprs: 13
; NumVgprs: 5
; ScratchSize: 0
; MemoryBound: 0
; FloatMode: 240
; IeeeMode: 1
; LDSByteSize: 1024 bytes/workgroup (compile time only)
; SGPRBlocks: 0
; VGPRBlocks: 0
; NumSGPRsForWavesPerEU: 13
; NumVGPRsForWavesPerEU: 5
; NamedBarCnt: 0
; Occupancy: 16
; WaveLimiterHint : 0
; COMPUTE_PGM_RSRC2:SCRATCH_EN: 0
; COMPUTE_PGM_RSRC2:USER_SGPR: 2
; COMPUTE_PGM_RSRC2:TRAP_HANDLER: 0
; COMPUTE_PGM_RSRC2:TGID_X_EN: 1
; COMPUTE_PGM_RSRC2:TGID_Y_EN: 0
; COMPUTE_PGM_RSRC2:TGID_Z_EN: 0
; COMPUTE_PGM_RSRC2:TIDIG_COMP_CNT: 0
	.section	.text._Z34subtract_right_partial_tile_kernelI6__halfii10custom_op1Lj256ELj1EEvPKT_PiPT1_,"axG",@progbits,_Z34subtract_right_partial_tile_kernelI6__halfii10custom_op1Lj256ELj1EEvPKT_PiPT1_,comdat
	.protected	_Z34subtract_right_partial_tile_kernelI6__halfii10custom_op1Lj256ELj1EEvPKT_PiPT1_ ; -- Begin function _Z34subtract_right_partial_tile_kernelI6__halfii10custom_op1Lj256ELj1EEvPKT_PiPT1_
	.globl	_Z34subtract_right_partial_tile_kernelI6__halfii10custom_op1Lj256ELj1EEvPKT_PiPT1_
	.p2align	8
	.type	_Z34subtract_right_partial_tile_kernelI6__halfii10custom_op1Lj256ELj1EEvPKT_PiPT1_,@function
_Z34subtract_right_partial_tile_kernelI6__halfii10custom_op1Lj256ELj1EEvPKT_PiPT1_: ; @_Z34subtract_right_partial_tile_kernelI6__halfii10custom_op1Lj256ELj1EEvPKT_PiPT1_
; %bb.0:
	s_load_b128 s[4:7], s[0:1], 0x0
	s_bfe_u32 s2, ttmp6, 0x4000c
	s_and_b32 s3, ttmp6, 15
	s_add_co_i32 s2, s2, 1
	s_getreg_b32 s8, hwreg(HW_REG_IB_STS2, 6, 4)
	s_mul_i32 s2, ttmp9, s2
	s_wait_xcnt 0x0
	s_load_b64 s[0:1], s[0:1], 0x10
	s_add_co_i32 s3, s3, s2
	s_cmp_eq_u32 s8, 0
	v_dual_add_nc_u32 v3, 1, v0 :: v_dual_lshlrev_b32 v2, 1, v0
	s_cselect_b32 s10, ttmp9, s3
	s_mov_b32 s3, 0
	s_lshl_b32 s2, s10, 8
	s_delay_alu instid0(SALU_CYCLE_1)
	s_lshl_b64 s[8:9], s[2:3], 1
	s_wait_kmcnt 0x0
	s_add_nc_u64 s[4:5], s[4:5], s[8:9]
	global_load_u16 v1, v0, s[4:5] scale_offset
	s_wait_xcnt 0x0
	s_load_b32 s4, s[6:7], s10 offset:0x0 scale_offset
	s_wait_kmcnt 0x0
	v_cmp_gt_u32_e32 vcc_lo, s4, v3
	s_wait_loadcnt 0x0
	ds_store_b16 v2, v1 offset:512
	s_wait_dscnt 0x0
	s_barrier_signal -1
	s_barrier_wait -1
	s_and_saveexec_b32 s4, vcc_lo
	s_cbranch_execz .LBB140_2
; %bb.1:
	ds_load_u16 v2, v2 offset:514
	s_wait_dscnt 0x0
	v_sub_f16_e32 v1, v1, v2
.LBB140_2:
	s_or_b32 exec_lo, exec_lo, s4
	s_delay_alu instid0(VALU_DEP_1) | instskip(SKIP_1) | instid1(SALU_CYCLE_1)
	v_cvt_f32_f16_e32 v1, v1
	s_lshl_b64 s[2:3], s[2:3], 2
	s_add_nc_u64 s[0:1], s[0:1], s[2:3]
	s_delay_alu instid0(VALU_DEP_1)
	v_cvt_i32_f32_e32 v1, v1
	global_store_b32 v0, v1, s[0:1] scale_offset
	s_endpgm
	.section	.rodata,"a",@progbits
	.p2align	6, 0x0
	.amdhsa_kernel _Z34subtract_right_partial_tile_kernelI6__halfii10custom_op1Lj256ELj1EEvPKT_PiPT1_
		.amdhsa_group_segment_fixed_size 1024
		.amdhsa_private_segment_fixed_size 0
		.amdhsa_kernarg_size 24
		.amdhsa_user_sgpr_count 2
		.amdhsa_user_sgpr_dispatch_ptr 0
		.amdhsa_user_sgpr_queue_ptr 0
		.amdhsa_user_sgpr_kernarg_segment_ptr 1
		.amdhsa_user_sgpr_dispatch_id 0
		.amdhsa_user_sgpr_kernarg_preload_length 0
		.amdhsa_user_sgpr_kernarg_preload_offset 0
		.amdhsa_user_sgpr_private_segment_size 0
		.amdhsa_wavefront_size32 1
		.amdhsa_uses_dynamic_stack 0
		.amdhsa_enable_private_segment 0
		.amdhsa_system_sgpr_workgroup_id_x 1
		.amdhsa_system_sgpr_workgroup_id_y 0
		.amdhsa_system_sgpr_workgroup_id_z 0
		.amdhsa_system_sgpr_workgroup_info 0
		.amdhsa_system_vgpr_workitem_id 0
		.amdhsa_next_free_vgpr 4
		.amdhsa_next_free_sgpr 11
		.amdhsa_named_barrier_count 0
		.amdhsa_reserve_vcc 1
		.amdhsa_float_round_mode_32 0
		.amdhsa_float_round_mode_16_64 0
		.amdhsa_float_denorm_mode_32 3
		.amdhsa_float_denorm_mode_16_64 3
		.amdhsa_fp16_overflow 0
		.amdhsa_memory_ordered 1
		.amdhsa_forward_progress 1
		.amdhsa_inst_pref_size 2
		.amdhsa_round_robin_scheduling 0
		.amdhsa_exception_fp_ieee_invalid_op 0
		.amdhsa_exception_fp_denorm_src 0
		.amdhsa_exception_fp_ieee_div_zero 0
		.amdhsa_exception_fp_ieee_overflow 0
		.amdhsa_exception_fp_ieee_underflow 0
		.amdhsa_exception_fp_ieee_inexact 0
		.amdhsa_exception_int_div_zero 0
	.end_amdhsa_kernel
	.section	.text._Z34subtract_right_partial_tile_kernelI6__halfii10custom_op1Lj256ELj1EEvPKT_PiPT1_,"axG",@progbits,_Z34subtract_right_partial_tile_kernelI6__halfii10custom_op1Lj256ELj1EEvPKT_PiPT1_,comdat
.Lfunc_end140:
	.size	_Z34subtract_right_partial_tile_kernelI6__halfii10custom_op1Lj256ELj1EEvPKT_PiPT1_, .Lfunc_end140-_Z34subtract_right_partial_tile_kernelI6__halfii10custom_op1Lj256ELj1EEvPKT_PiPT1_
                                        ; -- End function
	.set _Z34subtract_right_partial_tile_kernelI6__halfii10custom_op1Lj256ELj1EEvPKT_PiPT1_.num_vgpr, 4
	.set _Z34subtract_right_partial_tile_kernelI6__halfii10custom_op1Lj256ELj1EEvPKT_PiPT1_.num_agpr, 0
	.set _Z34subtract_right_partial_tile_kernelI6__halfii10custom_op1Lj256ELj1EEvPKT_PiPT1_.numbered_sgpr, 11
	.set _Z34subtract_right_partial_tile_kernelI6__halfii10custom_op1Lj256ELj1EEvPKT_PiPT1_.num_named_barrier, 0
	.set _Z34subtract_right_partial_tile_kernelI6__halfii10custom_op1Lj256ELj1EEvPKT_PiPT1_.private_seg_size, 0
	.set _Z34subtract_right_partial_tile_kernelI6__halfii10custom_op1Lj256ELj1EEvPKT_PiPT1_.uses_vcc, 1
	.set _Z34subtract_right_partial_tile_kernelI6__halfii10custom_op1Lj256ELj1EEvPKT_PiPT1_.uses_flat_scratch, 0
	.set _Z34subtract_right_partial_tile_kernelI6__halfii10custom_op1Lj256ELj1EEvPKT_PiPT1_.has_dyn_sized_stack, 0
	.set _Z34subtract_right_partial_tile_kernelI6__halfii10custom_op1Lj256ELj1EEvPKT_PiPT1_.has_recursion, 0
	.set _Z34subtract_right_partial_tile_kernelI6__halfii10custom_op1Lj256ELj1EEvPKT_PiPT1_.has_indirect_call, 0
	.section	.AMDGPU.csdata,"",@progbits
; Kernel info:
; codeLenInByte = 216
; TotalNumSgprs: 13
; NumVgprs: 4
; ScratchSize: 0
; MemoryBound: 0
; FloatMode: 240
; IeeeMode: 1
; LDSByteSize: 1024 bytes/workgroup (compile time only)
; SGPRBlocks: 0
; VGPRBlocks: 0
; NumSGPRsForWavesPerEU: 13
; NumVGPRsForWavesPerEU: 4
; NamedBarCnt: 0
; Occupancy: 16
; WaveLimiterHint : 0
; COMPUTE_PGM_RSRC2:SCRATCH_EN: 0
; COMPUTE_PGM_RSRC2:USER_SGPR: 2
; COMPUTE_PGM_RSRC2:TRAP_HANDLER: 0
; COMPUTE_PGM_RSRC2:TGID_X_EN: 1
; COMPUTE_PGM_RSRC2:TGID_Y_EN: 0
; COMPUTE_PGM_RSRC2:TGID_Z_EN: 0
; COMPUTE_PGM_RSRC2:TIDIG_COMP_CNT: 0
	.section	.text._Z34subtract_right_partial_tile_kernelIfii10custom_op2Lj256ELj1EEvPKT_PiPT1_,"axG",@progbits,_Z34subtract_right_partial_tile_kernelIfii10custom_op2Lj256ELj1EEvPKT_PiPT1_,comdat
	.protected	_Z34subtract_right_partial_tile_kernelIfii10custom_op2Lj256ELj1EEvPKT_PiPT1_ ; -- Begin function _Z34subtract_right_partial_tile_kernelIfii10custom_op2Lj256ELj1EEvPKT_PiPT1_
	.globl	_Z34subtract_right_partial_tile_kernelIfii10custom_op2Lj256ELj1EEvPKT_PiPT1_
	.p2align	8
	.type	_Z34subtract_right_partial_tile_kernelIfii10custom_op2Lj256ELj1EEvPKT_PiPT1_,@function
_Z34subtract_right_partial_tile_kernelIfii10custom_op2Lj256ELj1EEvPKT_PiPT1_: ; @_Z34subtract_right_partial_tile_kernelIfii10custom_op2Lj256ELj1EEvPKT_PiPT1_
; %bb.0:
	s_load_b128 s[4:7], s[0:1], 0x0
	s_bfe_u32 s2, ttmp6, 0x4000c
	s_and_b32 s3, ttmp6, 15
	s_add_co_i32 s2, s2, 1
	s_getreg_b32 s8, hwreg(HW_REG_IB_STS2, 6, 4)
	s_mul_i32 s2, ttmp9, s2
	s_wait_xcnt 0x0
	s_load_b64 s[0:1], s[0:1], 0x10
	s_add_co_i32 s3, s3, s2
	s_cmp_eq_u32 s8, 0
	v_dual_add_nc_u32 v3, 1, v0 :: v_dual_lshlrev_b32 v2, 2, v0
	s_cselect_b32 s8, ttmp9, s3
	s_mov_b32 s3, 0
	s_lshl_b32 s2, s8, 8
	s_delay_alu instid0(SALU_CYCLE_1)
	s_lshl_b64 s[2:3], s[2:3], 2
	s_wait_kmcnt 0x0
	s_add_nc_u64 s[4:5], s[4:5], s[2:3]
	global_load_b32 v1, v0, s[4:5] scale_offset
	s_wait_xcnt 0x0
	s_load_b32 s4, s[6:7], s8 offset:0x0 scale_offset
	s_wait_kmcnt 0x0
	v_cmp_gt_u32_e32 vcc_lo, s4, v3
	s_wait_loadcnt 0x0
	ds_store_b32 v2, v1 offset:1024
	s_wait_dscnt 0x0
	s_barrier_signal -1
	s_barrier_wait -1
	s_and_saveexec_b32 s4, vcc_lo
	s_cbranch_execz .LBB141_2
; %bb.1:
	ds_load_b32 v2, v2 offset:1028
	s_wait_dscnt 0x0
	v_fma_f32 v1, v2, 2.0, -v1
.LBB141_2:
	s_or_b32 exec_lo, exec_lo, s4
	s_delay_alu instid0(VALU_DEP_1)
	v_cvt_i32_f32_e32 v1, v1
	s_add_nc_u64 s[0:1], s[0:1], s[2:3]
	global_store_b32 v0, v1, s[0:1] scale_offset
	s_endpgm
	.section	.rodata,"a",@progbits
	.p2align	6, 0x0
	.amdhsa_kernel _Z34subtract_right_partial_tile_kernelIfii10custom_op2Lj256ELj1EEvPKT_PiPT1_
		.amdhsa_group_segment_fixed_size 2048
		.amdhsa_private_segment_fixed_size 0
		.amdhsa_kernarg_size 24
		.amdhsa_user_sgpr_count 2
		.amdhsa_user_sgpr_dispatch_ptr 0
		.amdhsa_user_sgpr_queue_ptr 0
		.amdhsa_user_sgpr_kernarg_segment_ptr 1
		.amdhsa_user_sgpr_dispatch_id 0
		.amdhsa_user_sgpr_kernarg_preload_length 0
		.amdhsa_user_sgpr_kernarg_preload_offset 0
		.amdhsa_user_sgpr_private_segment_size 0
		.amdhsa_wavefront_size32 1
		.amdhsa_uses_dynamic_stack 0
		.amdhsa_enable_private_segment 0
		.amdhsa_system_sgpr_workgroup_id_x 1
		.amdhsa_system_sgpr_workgroup_id_y 0
		.amdhsa_system_sgpr_workgroup_id_z 0
		.amdhsa_system_sgpr_workgroup_info 0
		.amdhsa_system_vgpr_workitem_id 0
		.amdhsa_next_free_vgpr 4
		.amdhsa_next_free_sgpr 9
		.amdhsa_named_barrier_count 0
		.amdhsa_reserve_vcc 1
		.amdhsa_float_round_mode_32 0
		.amdhsa_float_round_mode_16_64 0
		.amdhsa_float_denorm_mode_32 3
		.amdhsa_float_denorm_mode_16_64 3
		.amdhsa_fp16_overflow 0
		.amdhsa_memory_ordered 1
		.amdhsa_forward_progress 1
		.amdhsa_inst_pref_size 2
		.amdhsa_round_robin_scheduling 0
		.amdhsa_exception_fp_ieee_invalid_op 0
		.amdhsa_exception_fp_denorm_src 0
		.amdhsa_exception_fp_ieee_div_zero 0
		.amdhsa_exception_fp_ieee_overflow 0
		.amdhsa_exception_fp_ieee_underflow 0
		.amdhsa_exception_fp_ieee_inexact 0
		.amdhsa_exception_int_div_zero 0
	.end_amdhsa_kernel
	.section	.text._Z34subtract_right_partial_tile_kernelIfii10custom_op2Lj256ELj1EEvPKT_PiPT1_,"axG",@progbits,_Z34subtract_right_partial_tile_kernelIfii10custom_op2Lj256ELj1EEvPKT_PiPT1_,comdat
.Lfunc_end141:
	.size	_Z34subtract_right_partial_tile_kernelIfii10custom_op2Lj256ELj1EEvPKT_PiPT1_, .Lfunc_end141-_Z34subtract_right_partial_tile_kernelIfii10custom_op2Lj256ELj1EEvPKT_PiPT1_
                                        ; -- End function
	.set _Z34subtract_right_partial_tile_kernelIfii10custom_op2Lj256ELj1EEvPKT_PiPT1_.num_vgpr, 4
	.set _Z34subtract_right_partial_tile_kernelIfii10custom_op2Lj256ELj1EEvPKT_PiPT1_.num_agpr, 0
	.set _Z34subtract_right_partial_tile_kernelIfii10custom_op2Lj256ELj1EEvPKT_PiPT1_.numbered_sgpr, 9
	.set _Z34subtract_right_partial_tile_kernelIfii10custom_op2Lj256ELj1EEvPKT_PiPT1_.num_named_barrier, 0
	.set _Z34subtract_right_partial_tile_kernelIfii10custom_op2Lj256ELj1EEvPKT_PiPT1_.private_seg_size, 0
	.set _Z34subtract_right_partial_tile_kernelIfii10custom_op2Lj256ELj1EEvPKT_PiPT1_.uses_vcc, 1
	.set _Z34subtract_right_partial_tile_kernelIfii10custom_op2Lj256ELj1EEvPKT_PiPT1_.uses_flat_scratch, 0
	.set _Z34subtract_right_partial_tile_kernelIfii10custom_op2Lj256ELj1EEvPKT_PiPT1_.has_dyn_sized_stack, 0
	.set _Z34subtract_right_partial_tile_kernelIfii10custom_op2Lj256ELj1EEvPKT_PiPT1_.has_recursion, 0
	.set _Z34subtract_right_partial_tile_kernelIfii10custom_op2Lj256ELj1EEvPKT_PiPT1_.has_indirect_call, 0
	.section	.AMDGPU.csdata,"",@progbits
; Kernel info:
; codeLenInByte = 208
; TotalNumSgprs: 11
; NumVgprs: 4
; ScratchSize: 0
; MemoryBound: 0
; FloatMode: 240
; IeeeMode: 1
; LDSByteSize: 2048 bytes/workgroup (compile time only)
; SGPRBlocks: 0
; VGPRBlocks: 0
; NumSGPRsForWavesPerEU: 11
; NumVGPRsForWavesPerEU: 4
; NamedBarCnt: 0
; Occupancy: 16
; WaveLimiterHint : 0
; COMPUTE_PGM_RSRC2:SCRATCH_EN: 0
; COMPUTE_PGM_RSRC2:USER_SGPR: 2
; COMPUTE_PGM_RSRC2:TRAP_HANDLER: 0
; COMPUTE_PGM_RSRC2:TGID_X_EN: 1
; COMPUTE_PGM_RSRC2:TGID_Y_EN: 0
; COMPUTE_PGM_RSRC2:TGID_Z_EN: 0
; COMPUTE_PGM_RSRC2:TIDIG_COMP_CNT: 0
	.section	.text._Z34subtract_right_partial_tile_kernelIibi10custom_op1Lj128ELj1EEvPKT_PiPT1_,"axG",@progbits,_Z34subtract_right_partial_tile_kernelIibi10custom_op1Lj128ELj1EEvPKT_PiPT1_,comdat
	.protected	_Z34subtract_right_partial_tile_kernelIibi10custom_op1Lj128ELj1EEvPKT_PiPT1_ ; -- Begin function _Z34subtract_right_partial_tile_kernelIibi10custom_op1Lj128ELj1EEvPKT_PiPT1_
	.globl	_Z34subtract_right_partial_tile_kernelIibi10custom_op1Lj128ELj1EEvPKT_PiPT1_
	.p2align	8
	.type	_Z34subtract_right_partial_tile_kernelIibi10custom_op1Lj128ELj1EEvPKT_PiPT1_,@function
_Z34subtract_right_partial_tile_kernelIibi10custom_op1Lj128ELj1EEvPKT_PiPT1_: ; @_Z34subtract_right_partial_tile_kernelIibi10custom_op1Lj128ELj1EEvPKT_PiPT1_
; %bb.0:
	s_load_b128 s[4:7], s[0:1], 0x0
	s_bfe_u32 s2, ttmp6, 0x4000c
	s_and_b32 s3, ttmp6, 15
	s_add_co_i32 s2, s2, 1
	s_getreg_b32 s8, hwreg(HW_REG_IB_STS2, 6, 4)
	s_mul_i32 s2, ttmp9, s2
	s_wait_xcnt 0x0
	s_load_b64 s[0:1], s[0:1], 0x10
	s_add_co_i32 s3, s3, s2
	s_cmp_eq_u32 s8, 0
	v_dual_add_nc_u32 v4, 1, v0 :: v_dual_lshlrev_b32 v3, 2, v0
	s_cselect_b32 s8, ttmp9, s3
	s_mov_b32 s3, 0
	s_lshl_b32 s2, s8, 7
	v_mov_b32_e32 v2, 0
	s_lshl_b64 s[2:3], s[2:3], 2
	s_wait_kmcnt 0x0
	s_add_nc_u64 s[4:5], s[4:5], s[2:3]
	global_load_b32 v1, v0, s[4:5] scale_offset
	s_wait_xcnt 0x0
	s_load_b32 s4, s[6:7], s8 offset:0x0 scale_offset
	s_wait_kmcnt 0x0
	v_cmp_gt_u32_e32 vcc_lo, s4, v4
	s_wait_loadcnt 0x0
	ds_store_b32 v3, v1 offset:512
	s_wait_dscnt 0x0
	s_barrier_signal -1
	s_barrier_wait -1
	s_and_saveexec_b32 s4, vcc_lo
; %bb.1:
	ds_load_b32 v2, v3 offset:516
; %bb.2:
	s_or_b32 exec_lo, exec_lo, s4
	s_wait_dscnt 0x0
	v_cmp_ne_u32_e32 vcc_lo, v1, v2
	s_add_nc_u64 s[0:1], s[0:1], s[2:3]
	v_cndmask_b32_e64 v1, 0, 1, vcc_lo
	global_store_b32 v0, v1, s[0:1] scale_offset
	s_endpgm
	.section	.rodata,"a",@progbits
	.p2align	6, 0x0
	.amdhsa_kernel _Z34subtract_right_partial_tile_kernelIibi10custom_op1Lj128ELj1EEvPKT_PiPT1_
		.amdhsa_group_segment_fixed_size 1024
		.amdhsa_private_segment_fixed_size 0
		.amdhsa_kernarg_size 24
		.amdhsa_user_sgpr_count 2
		.amdhsa_user_sgpr_dispatch_ptr 0
		.amdhsa_user_sgpr_queue_ptr 0
		.amdhsa_user_sgpr_kernarg_segment_ptr 1
		.amdhsa_user_sgpr_dispatch_id 0
		.amdhsa_user_sgpr_kernarg_preload_length 0
		.amdhsa_user_sgpr_kernarg_preload_offset 0
		.amdhsa_user_sgpr_private_segment_size 0
		.amdhsa_wavefront_size32 1
		.amdhsa_uses_dynamic_stack 0
		.amdhsa_enable_private_segment 0
		.amdhsa_system_sgpr_workgroup_id_x 1
		.amdhsa_system_sgpr_workgroup_id_y 0
		.amdhsa_system_sgpr_workgroup_id_z 0
		.amdhsa_system_sgpr_workgroup_info 0
		.amdhsa_system_vgpr_workitem_id 0
		.amdhsa_next_free_vgpr 5
		.amdhsa_next_free_sgpr 9
		.amdhsa_named_barrier_count 0
		.amdhsa_reserve_vcc 1
		.amdhsa_float_round_mode_32 0
		.amdhsa_float_round_mode_16_64 0
		.amdhsa_float_denorm_mode_32 3
		.amdhsa_float_denorm_mode_16_64 3
		.amdhsa_fp16_overflow 0
		.amdhsa_memory_ordered 1
		.amdhsa_forward_progress 1
		.amdhsa_inst_pref_size 2
		.amdhsa_round_robin_scheduling 0
		.amdhsa_exception_fp_ieee_invalid_op 0
		.amdhsa_exception_fp_denorm_src 0
		.amdhsa_exception_fp_ieee_div_zero 0
		.amdhsa_exception_fp_ieee_overflow 0
		.amdhsa_exception_fp_ieee_underflow 0
		.amdhsa_exception_fp_ieee_inexact 0
		.amdhsa_exception_int_div_zero 0
	.end_amdhsa_kernel
	.section	.text._Z34subtract_right_partial_tile_kernelIibi10custom_op1Lj128ELj1EEvPKT_PiPT1_,"axG",@progbits,_Z34subtract_right_partial_tile_kernelIibi10custom_op1Lj128ELj1EEvPKT_PiPT1_,comdat
.Lfunc_end142:
	.size	_Z34subtract_right_partial_tile_kernelIibi10custom_op1Lj128ELj1EEvPKT_PiPT1_, .Lfunc_end142-_Z34subtract_right_partial_tile_kernelIibi10custom_op1Lj128ELj1EEvPKT_PiPT1_
                                        ; -- End function
	.set _Z34subtract_right_partial_tile_kernelIibi10custom_op1Lj128ELj1EEvPKT_PiPT1_.num_vgpr, 5
	.set _Z34subtract_right_partial_tile_kernelIibi10custom_op1Lj128ELj1EEvPKT_PiPT1_.num_agpr, 0
	.set _Z34subtract_right_partial_tile_kernelIibi10custom_op1Lj128ELj1EEvPKT_PiPT1_.numbered_sgpr, 9
	.set _Z34subtract_right_partial_tile_kernelIibi10custom_op1Lj128ELj1EEvPKT_PiPT1_.num_named_barrier, 0
	.set _Z34subtract_right_partial_tile_kernelIibi10custom_op1Lj128ELj1EEvPKT_PiPT1_.private_seg_size, 0
	.set _Z34subtract_right_partial_tile_kernelIibi10custom_op1Lj128ELj1EEvPKT_PiPT1_.uses_vcc, 1
	.set _Z34subtract_right_partial_tile_kernelIibi10custom_op1Lj128ELj1EEvPKT_PiPT1_.uses_flat_scratch, 0
	.set _Z34subtract_right_partial_tile_kernelIibi10custom_op1Lj128ELj1EEvPKT_PiPT1_.has_dyn_sized_stack, 0
	.set _Z34subtract_right_partial_tile_kernelIibi10custom_op1Lj128ELj1EEvPKT_PiPT1_.has_recursion, 0
	.set _Z34subtract_right_partial_tile_kernelIibi10custom_op1Lj128ELj1EEvPKT_PiPT1_.has_indirect_call, 0
	.section	.AMDGPU.csdata,"",@progbits
; Kernel info:
; codeLenInByte = 200
; TotalNumSgprs: 11
; NumVgprs: 5
; ScratchSize: 0
; MemoryBound: 0
; FloatMode: 240
; IeeeMode: 1
; LDSByteSize: 1024 bytes/workgroup (compile time only)
; SGPRBlocks: 0
; VGPRBlocks: 0
; NumSGPRsForWavesPerEU: 11
; NumVGPRsForWavesPerEU: 5
; NamedBarCnt: 0
; Occupancy: 16
; WaveLimiterHint : 0
; COMPUTE_PGM_RSRC2:SCRATCH_EN: 0
; COMPUTE_PGM_RSRC2:USER_SGPR: 2
; COMPUTE_PGM_RSRC2:TRAP_HANDLER: 0
; COMPUTE_PGM_RSRC2:TGID_X_EN: 1
; COMPUTE_PGM_RSRC2:TGID_Y_EN: 0
; COMPUTE_PGM_RSRC2:TGID_Z_EN: 0
; COMPUTE_PGM_RSRC2:TIDIG_COMP_CNT: 0
	.section	.text._Z34subtract_right_partial_tile_kernelIjiiN6hipcub3SumELj64ELj1EEvPKT_PiPT1_,"axG",@progbits,_Z34subtract_right_partial_tile_kernelIjiiN6hipcub3SumELj64ELj1EEvPKT_PiPT1_,comdat
	.protected	_Z34subtract_right_partial_tile_kernelIjiiN6hipcub3SumELj64ELj1EEvPKT_PiPT1_ ; -- Begin function _Z34subtract_right_partial_tile_kernelIjiiN6hipcub3SumELj64ELj1EEvPKT_PiPT1_
	.globl	_Z34subtract_right_partial_tile_kernelIjiiN6hipcub3SumELj64ELj1EEvPKT_PiPT1_
	.p2align	8
	.type	_Z34subtract_right_partial_tile_kernelIjiiN6hipcub3SumELj64ELj1EEvPKT_PiPT1_,@function
_Z34subtract_right_partial_tile_kernelIjiiN6hipcub3SumELj64ELj1EEvPKT_PiPT1_: ; @_Z34subtract_right_partial_tile_kernelIjiiN6hipcub3SumELj64ELj1EEvPKT_PiPT1_
; %bb.0:
	s_load_b128 s[4:7], s[0:1], 0x0
	s_bfe_u32 s2, ttmp6, 0x4000c
	s_and_b32 s3, ttmp6, 15
	s_add_co_i32 s2, s2, 1
	s_getreg_b32 s8, hwreg(HW_REG_IB_STS2, 6, 4)
	s_mul_i32 s2, ttmp9, s2
	s_wait_xcnt 0x0
	s_load_b64 s[0:1], s[0:1], 0x10
	s_add_co_i32 s3, s3, s2
	s_cmp_eq_u32 s8, 0
	v_dual_add_nc_u32 v3, 1, v0 :: v_dual_lshlrev_b32 v2, 2, v0
	s_cselect_b32 s8, ttmp9, s3
	s_mov_b32 s3, 0
	s_lshl_b32 s2, s8, 6
	s_delay_alu instid0(SALU_CYCLE_1)
	s_lshl_b64 s[2:3], s[2:3], 2
	s_wait_kmcnt 0x0
	s_add_nc_u64 s[4:5], s[4:5], s[2:3]
	global_load_b32 v1, v0, s[4:5] scale_offset
	s_wait_xcnt 0x0
	s_load_b32 s4, s[6:7], s8 offset:0x0 scale_offset
	s_wait_kmcnt 0x0
	v_cmp_gt_u32_e32 vcc_lo, s4, v3
	s_wait_loadcnt 0x0
	ds_store_b32 v2, v1 offset:256
	s_wait_dscnt 0x0
	s_barrier_signal -1
	s_barrier_wait -1
	s_and_saveexec_b32 s4, vcc_lo
	s_cbranch_execz .LBB143_2
; %bb.1:
	ds_load_b32 v2, v2 offset:260
	s_wait_dscnt 0x0
	v_add_nc_u32_e32 v1, v2, v1
.LBB143_2:
	s_or_b32 exec_lo, exec_lo, s4
	s_add_nc_u64 s[0:1], s[0:1], s[2:3]
	global_store_b32 v0, v1, s[0:1] scale_offset
	s_endpgm
	.section	.rodata,"a",@progbits
	.p2align	6, 0x0
	.amdhsa_kernel _Z34subtract_right_partial_tile_kernelIjiiN6hipcub3SumELj64ELj1EEvPKT_PiPT1_
		.amdhsa_group_segment_fixed_size 512
		.amdhsa_private_segment_fixed_size 0
		.amdhsa_kernarg_size 24
		.amdhsa_user_sgpr_count 2
		.amdhsa_user_sgpr_dispatch_ptr 0
		.amdhsa_user_sgpr_queue_ptr 0
		.amdhsa_user_sgpr_kernarg_segment_ptr 1
		.amdhsa_user_sgpr_dispatch_id 0
		.amdhsa_user_sgpr_kernarg_preload_length 0
		.amdhsa_user_sgpr_kernarg_preload_offset 0
		.amdhsa_user_sgpr_private_segment_size 0
		.amdhsa_wavefront_size32 1
		.amdhsa_uses_dynamic_stack 0
		.amdhsa_enable_private_segment 0
		.amdhsa_system_sgpr_workgroup_id_x 1
		.amdhsa_system_sgpr_workgroup_id_y 0
		.amdhsa_system_sgpr_workgroup_id_z 0
		.amdhsa_system_sgpr_workgroup_info 0
		.amdhsa_system_vgpr_workitem_id 0
		.amdhsa_next_free_vgpr 4
		.amdhsa_next_free_sgpr 9
		.amdhsa_named_barrier_count 0
		.amdhsa_reserve_vcc 1
		.amdhsa_float_round_mode_32 0
		.amdhsa_float_round_mode_16_64 0
		.amdhsa_float_denorm_mode_32 3
		.amdhsa_float_denorm_mode_16_64 3
		.amdhsa_fp16_overflow 0
		.amdhsa_memory_ordered 1
		.amdhsa_forward_progress 1
		.amdhsa_inst_pref_size 2
		.amdhsa_round_robin_scheduling 0
		.amdhsa_exception_fp_ieee_invalid_op 0
		.amdhsa_exception_fp_denorm_src 0
		.amdhsa_exception_fp_ieee_div_zero 0
		.amdhsa_exception_fp_ieee_overflow 0
		.amdhsa_exception_fp_ieee_underflow 0
		.amdhsa_exception_fp_ieee_inexact 0
		.amdhsa_exception_int_div_zero 0
	.end_amdhsa_kernel
	.section	.text._Z34subtract_right_partial_tile_kernelIjiiN6hipcub3SumELj64ELj1EEvPKT_PiPT1_,"axG",@progbits,_Z34subtract_right_partial_tile_kernelIjiiN6hipcub3SumELj64ELj1EEvPKT_PiPT1_,comdat
.Lfunc_end143:
	.size	_Z34subtract_right_partial_tile_kernelIjiiN6hipcub3SumELj64ELj1EEvPKT_PiPT1_, .Lfunc_end143-_Z34subtract_right_partial_tile_kernelIjiiN6hipcub3SumELj64ELj1EEvPKT_PiPT1_
                                        ; -- End function
	.set _Z34subtract_right_partial_tile_kernelIjiiN6hipcub3SumELj64ELj1EEvPKT_PiPT1_.num_vgpr, 4
	.set _Z34subtract_right_partial_tile_kernelIjiiN6hipcub3SumELj64ELj1EEvPKT_PiPT1_.num_agpr, 0
	.set _Z34subtract_right_partial_tile_kernelIjiiN6hipcub3SumELj64ELj1EEvPKT_PiPT1_.numbered_sgpr, 9
	.set _Z34subtract_right_partial_tile_kernelIjiiN6hipcub3SumELj64ELj1EEvPKT_PiPT1_.num_named_barrier, 0
	.set _Z34subtract_right_partial_tile_kernelIjiiN6hipcub3SumELj64ELj1EEvPKT_PiPT1_.private_seg_size, 0
	.set _Z34subtract_right_partial_tile_kernelIjiiN6hipcub3SumELj64ELj1EEvPKT_PiPT1_.uses_vcc, 1
	.set _Z34subtract_right_partial_tile_kernelIjiiN6hipcub3SumELj64ELj1EEvPKT_PiPT1_.uses_flat_scratch, 0
	.set _Z34subtract_right_partial_tile_kernelIjiiN6hipcub3SumELj64ELj1EEvPKT_PiPT1_.has_dyn_sized_stack, 0
	.set _Z34subtract_right_partial_tile_kernelIjiiN6hipcub3SumELj64ELj1EEvPKT_PiPT1_.has_recursion, 0
	.set _Z34subtract_right_partial_tile_kernelIjiiN6hipcub3SumELj64ELj1EEvPKT_PiPT1_.has_indirect_call, 0
	.section	.AMDGPU.csdata,"",@progbits
; Kernel info:
; codeLenInByte = 196
; TotalNumSgprs: 11
; NumVgprs: 4
; ScratchSize: 0
; MemoryBound: 0
; FloatMode: 240
; IeeeMode: 1
; LDSByteSize: 512 bytes/workgroup (compile time only)
; SGPRBlocks: 0
; VGPRBlocks: 0
; NumSGPRsForWavesPerEU: 11
; NumVGPRsForWavesPerEU: 4
; NamedBarCnt: 0
; Occupancy: 16
; WaveLimiterHint : 0
; COMPUTE_PGM_RSRC2:SCRATCH_EN: 0
; COMPUTE_PGM_RSRC2:USER_SGPR: 2
; COMPUTE_PGM_RSRC2:TRAP_HANDLER: 0
; COMPUTE_PGM_RSRC2:TGID_X_EN: 1
; COMPUTE_PGM_RSRC2:TGID_Y_EN: 0
; COMPUTE_PGM_RSRC2:TGID_Z_EN: 0
; COMPUTE_PGM_RSRC2:TIDIG_COMP_CNT: 0
	.section	.AMDGPU.gpr_maximums,"",@progbits
	.set amdgpu.max_num_vgpr, 0
	.set amdgpu.max_num_agpr, 0
	.set amdgpu.max_num_sgpr, 0
	.section	.AMDGPU.csdata,"",@progbits
	.type	__hip_cuid_3b4161d859a01f6b,@object ; @__hip_cuid_3b4161d859a01f6b
	.section	.bss,"aw",@nobits
	.globl	__hip_cuid_3b4161d859a01f6b
__hip_cuid_3b4161d859a01f6b:
	.byte	0                               ; 0x0
	.size	__hip_cuid_3b4161d859a01f6b, 1

	.ident	"AMD clang version 22.0.0git (https://github.com/RadeonOpenCompute/llvm-project roc-7.2.4 26084 f58b06dce1f9c15707c5f808fd002e18c2accf7e)"
	.section	".note.GNU-stack","",@progbits
	.addrsig
	.addrsig_sym __hip_cuid_3b4161d859a01f6b
	.amdgpu_metadata
---
amdhsa.kernels:
  - .args:
      - .address_space:  global
        .offset:         0
        .size:           8
        .value_kind:     global_buffer
      - .address_space:  global
        .offset:         8
        .size:           8
        .value_kind:     global_buffer
    .group_segment_fixed_size: 936
    .kernarg_segment_align: 8
    .kernarg_segment_size: 16
    .language:       OpenCL C
    .language_version:
      - 2
      - 0
    .max_flat_workgroup_size: 234
    .name:           _Z17flag_heads_kernelIsb15custom_flag_op1IsELj234ELj9EEvPT_Px
    .private_segment_fixed_size: 0
    .sgpr_count:     16
    .sgpr_spill_count: 0
    .symbol:         _Z17flag_heads_kernelIsb15custom_flag_op1IsELj234ELj9EEvPT_Px.kd
    .uniform_work_group_size: 1
    .uses_dynamic_stack: false
    .vgpr_count:     20
    .vgpr_spill_count: 0
    .wavefront_size: 32
  - .args:
      - .address_space:  global
        .offset:         0
        .size:           8
        .value_kind:     global_buffer
      - .address_space:  global
        .offset:         8
        .size:           8
        .value_kind:     global_buffer
    .group_segment_fixed_size: 400
    .kernarg_segment_align: 8
    .kernarg_segment_size: 16
    .language:       OpenCL C
    .language_version:
      - 2
      - 0
    .max_flat_workgroup_size: 100
    .name:           _Z17flag_heads_kernelItiN10test_utils7greaterELj100ELj3EEvPT_Px
    .private_segment_fixed_size: 0
    .sgpr_count:     11
    .sgpr_spill_count: 0
    .symbol:         _Z17flag_heads_kernelItiN10test_utils7greaterELj100ELj3EEvPT_Px.kd
    .uniform_work_group_size: 1
    .uses_dynamic_stack: false
    .vgpr_count:     9
    .vgpr_spill_count: 0
    .wavefront_size: 32
  - .args:
      - .address_space:  global
        .offset:         0
        .size:           8
        .value_kind:     global_buffer
      - .address_space:  global
        .offset:         8
        .size:           8
        .value_kind:     global_buffer
    .group_segment_fixed_size: 148
    .kernarg_segment_align: 8
    .kernarg_segment_size: 16
    .language:       OpenCL C
    .language_version:
      - 2
      - 0
    .max_flat_workgroup_size: 37
    .name:           _Z17flag_heads_kernelI12hip_bfloat16iN10test_utils7greaterELj37ELj3EEvPT_Px
    .private_segment_fixed_size: 0
    .sgpr_count:     11
    .sgpr_spill_count: 0
    .symbol:         _Z17flag_heads_kernelI12hip_bfloat16iN10test_utils7greaterELj37ELj3EEvPT_Px.kd
    .uniform_work_group_size: 1
    .uses_dynamic_stack: false
    .vgpr_count:     9
    .vgpr_spill_count: 0
    .wavefront_size: 32
  - .args:
      - .address_space:  global
        .offset:         0
        .size:           8
        .value_kind:     global_buffer
      - .address_space:  global
        .offset:         8
        .size:           8
        .value_kind:     global_buffer
    .group_segment_fixed_size: 148
    .kernarg_segment_align: 8
    .kernarg_segment_size: 16
    .language:       OpenCL C
    .language_version:
      - 2
      - 0
    .max_flat_workgroup_size: 37
    .name:           _Z17flag_heads_kernelI6__halfiN10test_utils7greaterELj37ELj5EEvPT_Px
    .private_segment_fixed_size: 0
    .sgpr_count:     11
    .sgpr_spill_count: 0
    .symbol:         _Z17flag_heads_kernelI6__halfiN10test_utils7greaterELj37ELj5EEvPT_Px.kd
    .uniform_work_group_size: 1
    .uses_dynamic_stack: false
    .vgpr_count:     13
    .vgpr_spill_count: 0
    .wavefront_size: 32
  - .args:
      - .address_space:  global
        .offset:         0
        .size:           8
        .value_kind:     global_buffer
      - .address_space:  global
        .offset:         8
        .size:           8
        .value_kind:     global_buffer
    .group_segment_fixed_size: 7424
    .kernarg_segment_align: 8
    .kernarg_segment_size: 16
    .language:       OpenCL C
    .language_version:
      - 2
      - 0
    .max_flat_workgroup_size: 464
    .name:           _Z17flag_heads_kernelIdjN6hipcub8EqualityELj464ELj2EEvPT_Px
    .private_segment_fixed_size: 0
    .sgpr_count:     13
    .sgpr_spill_count: 0
    .symbol:         _Z17flag_heads_kernelIdjN6hipcub8EqualityELj464ELj2EEvPT_Px.kd
    .uniform_work_group_size: 1
    .uses_dynamic_stack: false
    .vgpr_count:     10
    .vgpr_spill_count: 0
    .wavefront_size: 32
  - .args:
      - .address_space:  global
        .offset:         0
        .size:           8
        .value_kind:     global_buffer
      - .address_space:  global
        .offset:         8
        .size:           8
        .value_kind:     global_buffer
    .group_segment_fixed_size: 528
    .kernarg_segment_align: 8
    .kernarg_segment_size: 16
    .language:       OpenCL C
    .language_version:
      - 2
      - 0
    .max_flat_workgroup_size: 33
    .name:           _Z17flag_heads_kernelIdi15custom_flag_op2IdELj33ELj5EEvPT_Px
    .private_segment_fixed_size: 0
    .sgpr_count:     13
    .sgpr_spill_count: 0
    .symbol:         _Z17flag_heads_kernelIdi15custom_flag_op2IdELj33ELj5EEvPT_Px.kd
    .uniform_work_group_size: 1
    .uses_dynamic_stack: false
    .vgpr_count:     32
    .vgpr_spill_count: 0
    .wavefront_size: 32
  - .args:
      - .address_space:  global
        .offset:         0
        .size:           8
        .value_kind:     global_buffer
      - .address_space:  global
        .offset:         8
        .size:           8
        .value_kind:     global_buffer
    .group_segment_fixed_size: 2048
    .kernarg_segment_align: 8
    .kernarg_segment_size: 16
    .language:       OpenCL C
    .language_version:
      - 2
      - 0
    .max_flat_workgroup_size: 512
    .name:           _Z17flag_heads_kernelIssN6hipcub8EqualityELj512ELj8EEvPT_Px
    .private_segment_fixed_size: 0
    .sgpr_count:     11
    .sgpr_spill_count: 0
    .symbol:         _Z17flag_heads_kernelIssN6hipcub8EqualityELj512ELj8EEvPT_Px.kd
    .uniform_work_group_size: 1
    .uses_dynamic_stack: false
    .vgpr_count:     19
    .vgpr_spill_count: 0
    .wavefront_size: 32
  - .args:
      - .address_space:  global
        .offset:         0
        .size:           8
        .value_kind:     global_buffer
      - .address_space:  global
        .offset:         8
        .size:           8
        .value_kind:     global_buffer
    .group_segment_fixed_size: 1024
    .kernarg_segment_align: 8
    .kernarg_segment_size: 16
    .language:       OpenCL C
    .language_version:
      - 2
      - 0
    .max_flat_workgroup_size: 256
    .name:           _Z17flag_heads_kernelIth15custom_flag_op2ItELj256ELj7EEvPT_Px
    .private_segment_fixed_size: 0
    .sgpr_count:     11
    .sgpr_spill_count: 0
    .symbol:         _Z17flag_heads_kernelIth15custom_flag_op2ItELj256ELj7EEvPT_Px.kd
    .uniform_work_group_size: 1
    .uses_dynamic_stack: false
    .vgpr_count:     18
    .vgpr_spill_count: 0
    .wavefront_size: 32
  - .args:
      - .address_space:  global
        .offset:         0
        .size:           8
        .value_kind:     global_buffer
      - .address_space:  global
        .offset:         8
        .size:           8
        .value_kind:     global_buffer
    .group_segment_fixed_size: 1024
    .kernarg_segment_align: 8
    .kernarg_segment_size: 16
    .language:       OpenCL C
    .language_version:
      - 2
      - 0
    .max_flat_workgroup_size: 128
    .name:           _Z17flag_heads_kernelIisN10test_utils4lessELj128ELj4EEvPT_Px
    .private_segment_fixed_size: 0
    .sgpr_count:     11
    .sgpr_spill_count: 0
    .symbol:         _Z17flag_heads_kernelIisN10test_utils4lessELj128ELj4EEvPT_Px.kd
    .uniform_work_group_size: 1
    .uses_dynamic_stack: false
    .vgpr_count:     11
    .vgpr_spill_count: 0
    .wavefront_size: 32
  - .args:
      - .address_space:  global
        .offset:         0
        .size:           8
        .value_kind:     global_buffer
      - .address_space:  global
        .offset:         8
        .size:           8
        .value_kind:     global_buffer
    .group_segment_fixed_size: 512
    .kernarg_segment_align: 8
    .kernarg_segment_size: 16
    .language:       OpenCL C
    .language_version:
      - 2
      - 0
    .max_flat_workgroup_size: 64
    .name:           _Z17flag_heads_kernelIic15custom_flag_op2IiELj64ELj2EEvPT_Px
    .private_segment_fixed_size: 0
    .sgpr_count:     11
    .sgpr_spill_count: 0
    .symbol:         _Z17flag_heads_kernelIic15custom_flag_op2IiELj64ELj2EEvPT_Px.kd
    .uniform_work_group_size: 1
    .uses_dynamic_stack: false
    .vgpr_count:     7
    .vgpr_spill_count: 0
    .wavefront_size: 32
  - .args:
      - .address_space:  global
        .offset:         0
        .size:           8
        .value_kind:     global_buffer
      - .address_space:  global
        .offset:         8
        .size:           8
        .value_kind:     global_buffer
    .group_segment_fixed_size: 510
    .kernarg_segment_align: 8
    .kernarg_segment_size: 16
    .language:       OpenCL C
    .language_version:
      - 2
      - 0
    .max_flat_workgroup_size: 255
    .name:           _Z17flag_heads_kernelIhbN6hipcub8EqualityELj255ELj1EEvPT_Px
    .private_segment_fixed_size: 0
    .sgpr_count:     11
    .sgpr_spill_count: 0
    .symbol:         _Z17flag_heads_kernelIhbN6hipcub8EqualityELj255ELj1EEvPT_Px.kd
    .uniform_work_group_size: 1
    .uses_dynamic_stack: false
    .vgpr_count:     4
    .vgpr_spill_count: 0
    .wavefront_size: 32
  - .args:
      - .address_space:  global
        .offset:         0
        .size:           8
        .value_kind:     global_buffer
      - .address_space:  global
        .offset:         8
        .size:           8
        .value_kind:     global_buffer
    .group_segment_fixed_size: 1296
    .kernarg_segment_align: 8
    .kernarg_segment_size: 16
    .language:       OpenCL C
    .language_version:
      - 2
      - 0
    .max_flat_workgroup_size: 162
    .name:           _Z17flag_heads_kernelIjxN6hipcub10InequalityELj162ELj1EEvPT_Px
    .private_segment_fixed_size: 0
    .sgpr_count:     11
    .sgpr_spill_count: 0
    .symbol:         _Z17flag_heads_kernelIjxN6hipcub10InequalityELj162ELj1EEvPT_Px.kd
    .uniform_work_group_size: 1
    .uses_dynamic_stack: false
    .vgpr_count:     4
    .vgpr_spill_count: 0
    .wavefront_size: 32
  - .args:
      - .address_space:  global
        .offset:         0
        .size:           8
        .value_kind:     global_buffer
      - .address_space:  global
        .offset:         8
        .size:           8
        .value_kind:     global_buffer
    .group_segment_fixed_size: 8160
    .kernarg_segment_align: 8
    .kernarg_segment_size: 16
    .language:       OpenCL C
    .language_version:
      - 2
      - 0
    .max_flat_workgroup_size: 510
    .name:           _Z17flag_heads_kernelIxcN10test_utils13greater_equalELj510ELj1EEvPT_Px
    .private_segment_fixed_size: 0
    .sgpr_count:     13
    .sgpr_spill_count: 0
    .symbol:         _Z17flag_heads_kernelIxcN10test_utils13greater_equalELj510ELj1EEvPT_Px.kd
    .uniform_work_group_size: 1
    .uses_dynamic_stack: false
    .vgpr_count:     6
    .vgpr_spill_count: 0
    .wavefront_size: 32
  - .args:
      - .address_space:  global
        .offset:         0
        .size:           8
        .value_kind:     global_buffer
      - .address_space:  global
        .offset:         8
        .size:           8
        .value_kind:     global_buffer
    .group_segment_fixed_size: 148
    .kernarg_segment_align: 8
    .kernarg_segment_size: 16
    .language:       OpenCL C
    .language_version:
      - 2
      - 0
    .max_flat_workgroup_size: 37
    .name:           _Z17flag_heads_kernelI12hip_bfloat16iN10test_utils7greaterELj37ELj1EEvPT_Px
    .private_segment_fixed_size: 0
    .sgpr_count:     11
    .sgpr_spill_count: 0
    .symbol:         _Z17flag_heads_kernelI12hip_bfloat16iN10test_utils7greaterELj37ELj1EEvPT_Px.kd
    .uniform_work_group_size: 1
    .uses_dynamic_stack: false
    .vgpr_count:     5
    .vgpr_spill_count: 0
    .wavefront_size: 32
  - .args:
      - .address_space:  global
        .offset:         0
        .size:           8
        .value_kind:     global_buffer
      - .address_space:  global
        .offset:         8
        .size:           8
        .value_kind:     global_buffer
    .group_segment_fixed_size: 148
    .kernarg_segment_align: 8
    .kernarg_segment_size: 16
    .language:       OpenCL C
    .language_version:
      - 2
      - 0
    .max_flat_workgroup_size: 37
    .name:           _Z17flag_heads_kernelI6__halfiN10test_utils7greaterELj37ELj1EEvPT_Px
    .private_segment_fixed_size: 0
    .sgpr_count:     11
    .sgpr_spill_count: 0
    .symbol:         _Z17flag_heads_kernelI6__halfiN10test_utils7greaterELj37ELj1EEvPT_Px.kd
    .uniform_work_group_size: 1
    .uses_dynamic_stack: false
    .vgpr_count:     4
    .vgpr_spill_count: 0
    .wavefront_size: 32
  - .args:
      - .address_space:  global
        .offset:         0
        .size:           8
        .value_kind:     global_buffer
      - .address_space:  global
        .offset:         8
        .size:           8
        .value_kind:     global_buffer
    .group_segment_fixed_size: 296
    .kernarg_segment_align: 8
    .kernarg_segment_size: 16
    .language:       OpenCL C
    .language_version:
      - 2
      - 0
    .max_flat_workgroup_size: 37
    .name:           _Z17flag_heads_kernelIfi15custom_flag_op1IfELj37ELj1EEvPT_Px
    .private_segment_fixed_size: 0
    .sgpr_count:     11
    .sgpr_spill_count: 0
    .symbol:         _Z17flag_heads_kernelIfi15custom_flag_op1IfELj37ELj1EEvPT_Px.kd
    .uniform_work_group_size: 1
    .uses_dynamic_stack: false
    .vgpr_count:     5
    .vgpr_spill_count: 0
    .wavefront_size: 32
  - .args:
      - .address_space:  global
        .offset:         0
        .size:           8
        .value_kind:     global_buffer
      - .address_space:  global
        .offset:         8
        .size:           8
        .value_kind:     global_buffer
    .group_segment_fixed_size: 1040
    .kernarg_segment_align: 8
    .kernarg_segment_size: 16
    .language:       OpenCL C
    .language_version:
      - 2
      - 0
    .max_flat_workgroup_size: 65
    .name:           _Z17flag_heads_kernelIdjN10test_utils7greaterELj65ELj1EEvPT_Px
    .private_segment_fixed_size: 0
    .sgpr_count:     13
    .sgpr_spill_count: 0
    .symbol:         _Z17flag_heads_kernelIdjN10test_utils7greaterELj65ELj1EEvPT_Px.kd
    .uniform_work_group_size: 1
    .uses_dynamic_stack: false
    .vgpr_count:     6
    .vgpr_spill_count: 0
    .wavefront_size: 32
  - .args:
      - .address_space:  global
        .offset:         0
        .size:           8
        .value_kind:     global_buffer
      - .address_space:  global
        .offset:         8
        .size:           8
        .value_kind:     global_buffer
    .group_segment_fixed_size: 2048
    .kernarg_segment_align: 8
    .kernarg_segment_size: 16
    .language:       OpenCL C
    .language_version:
      - 2
      - 0
    .max_flat_workgroup_size: 256
    .name:           _Z17flag_heads_kernelIib15custom_flag_op1IiELj256ELj1EEvPT_Px
    .private_segment_fixed_size: 0
    .sgpr_count:     11
    .sgpr_spill_count: 0
    .symbol:         _Z17flag_heads_kernelIib15custom_flag_op1IiELj256ELj1EEvPT_Px.kd
    .uniform_work_group_size: 1
    .uses_dynamic_stack: false
    .vgpr_count:     5
    .vgpr_spill_count: 0
    .wavefront_size: 32
  - .args:
      - .address_space:  global
        .offset:         0
        .size:           8
        .value_kind:     global_buffer
      - .address_space:  global
        .offset:         8
        .size:           8
        .value_kind:     global_buffer
    .group_segment_fixed_size: 2048
    .kernarg_segment_align: 8
    .kernarg_segment_size: 16
    .language:       OpenCL C
    .language_version:
      - 2
      - 0
    .max_flat_workgroup_size: 1024
    .name:           _Z17flag_heads_kernelIccN10test_utils10less_equalELj1024ELj1EEvPT_Px
    .private_segment_fixed_size: 0
    .sgpr_count:     11
    .sgpr_spill_count: 0
    .symbol:         _Z17flag_heads_kernelIccN10test_utils10less_equalELj1024ELj1EEvPT_Px.kd
    .uniform_work_group_size: 1
    .uses_dynamic_stack: false
    .vgpr_count:     4
    .vgpr_spill_count: 0
    .wavefront_size: 32
  - .args:
      - .address_space:  global
        .offset:         0
        .size:           8
        .value_kind:     global_buffer
      - .address_space:  global
        .offset:         8
        .size:           8
        .value_kind:     global_buffer
    .group_segment_fixed_size: 1024
    .kernarg_segment_align: 8
    .kernarg_segment_size: 16
    .language:       OpenCL C
    .language_version:
      - 2
      - 0
    .max_flat_workgroup_size: 256
    .name:           _Z17flag_heads_kernelI12hip_bfloat16iN10test_utils4lessELj256ELj1EEvPT_Px
    .private_segment_fixed_size: 0
    .sgpr_count:     11
    .sgpr_spill_count: 0
    .symbol:         _Z17flag_heads_kernelI12hip_bfloat16iN10test_utils4lessELj256ELj1EEvPT_Px.kd
    .uniform_work_group_size: 1
    .uses_dynamic_stack: false
    .vgpr_count:     5
    .vgpr_spill_count: 0
    .wavefront_size: 32
  - .args:
      - .address_space:  global
        .offset:         0
        .size:           8
        .value_kind:     global_buffer
      - .address_space:  global
        .offset:         8
        .size:           8
        .value_kind:     global_buffer
    .group_segment_fixed_size: 1024
    .kernarg_segment_align: 8
    .kernarg_segment_size: 16
    .language:       OpenCL C
    .language_version:
      - 2
      - 0
    .max_flat_workgroup_size: 256
    .name:           _Z17flag_heads_kernelI6__halfiN10test_utils4lessELj256ELj1EEvPT_Px
    .private_segment_fixed_size: 0
    .sgpr_count:     11
    .sgpr_spill_count: 0
    .symbol:         _Z17flag_heads_kernelI6__halfiN10test_utils4lessELj256ELj1EEvPT_Px.kd
    .uniform_work_group_size: 1
    .uses_dynamic_stack: false
    .vgpr_count:     4
    .vgpr_spill_count: 0
    .wavefront_size: 32
  - .args:
      - .address_space:  global
        .offset:         0
        .size:           8
        .value_kind:     global_buffer
      - .address_space:  global
        .offset:         8
        .size:           8
        .value_kind:     global_buffer
    .group_segment_fixed_size: 2048
    .kernarg_segment_align: 8
    .kernarg_segment_size: 16
    .language:       OpenCL C
    .language_version:
      - 2
      - 0
    .max_flat_workgroup_size: 256
    .name:           _Z17flag_heads_kernelIfiN10test_utils4lessELj256ELj1EEvPT_Px
    .private_segment_fixed_size: 0
    .sgpr_count:     11
    .sgpr_spill_count: 0
    .symbol:         _Z17flag_heads_kernelIfiN10test_utils4lessELj256ELj1EEvPT_Px.kd
    .uniform_work_group_size: 1
    .uses_dynamic_stack: false
    .vgpr_count:     4
    .vgpr_spill_count: 0
    .wavefront_size: 32
  - .args:
      - .address_space:  global
        .offset:         0
        .size:           8
        .value_kind:     global_buffer
      - .address_space:  global
        .offset:         8
        .size:           8
        .value_kind:     global_buffer
    .group_segment_fixed_size: 1024
    .kernarg_segment_align: 8
    .kernarg_segment_size: 16
    .language:       OpenCL C
    .language_version:
      - 2
      - 0
    .max_flat_workgroup_size: 128
    .name:           _Z17flag_heads_kernelIibN6hipcub10InequalityELj128ELj1EEvPT_Px
    .private_segment_fixed_size: 0
    .sgpr_count:     11
    .sgpr_spill_count: 0
    .symbol:         _Z17flag_heads_kernelIibN6hipcub10InequalityELj128ELj1EEvPT_Px.kd
    .uniform_work_group_size: 1
    .uses_dynamic_stack: false
    .vgpr_count:     4
    .vgpr_spill_count: 0
    .wavefront_size: 32
  - .args:
      - .address_space:  global
        .offset:         0
        .size:           8
        .value_kind:     global_buffer
      - .address_space:  global
        .offset:         8
        .size:           8
        .value_kind:     global_buffer
    .group_segment_fixed_size: 512
    .kernarg_segment_align: 8
    .kernarg_segment_size: 16
    .language:       OpenCL C
    .language_version:
      - 2
      - 0
    .max_flat_workgroup_size: 64
    .name:           _Z17flag_heads_kernelIjiN6hipcub8EqualityELj64ELj1EEvPT_Px
    .private_segment_fixed_size: 0
    .sgpr_count:     11
    .sgpr_spill_count: 0
    .symbol:         _Z17flag_heads_kernelIjiN6hipcub8EqualityELj64ELj1EEvPT_Px.kd
    .uniform_work_group_size: 1
    .uses_dynamic_stack: false
    .vgpr_count:     4
    .vgpr_spill_count: 0
    .wavefront_size: 32
  - .args:
      - .address_space:  global
        .offset:         0
        .size:           8
        .value_kind:     global_buffer
      - .address_space:  global
        .offset:         8
        .size:           8
        .value_kind:     global_buffer
    .group_segment_fixed_size: 936
    .kernarg_segment_align: 8
    .kernarg_segment_size: 16
    .language:       OpenCL C
    .language_version:
      - 2
      - 0
    .max_flat_workgroup_size: 234
    .name:           _Z17flag_tails_kernelIsb15custom_flag_op1IsELj234ELj9EEvPT_Px
    .private_segment_fixed_size: 0
    .sgpr_count:     17
    .sgpr_spill_count: 0
    .symbol:         _Z17flag_tails_kernelIsb15custom_flag_op1IsELj234ELj9EEvPT_Px.kd
    .uniform_work_group_size: 1
    .uses_dynamic_stack: false
    .vgpr_count:     20
    .vgpr_spill_count: 0
    .wavefront_size: 32
  - .args:
      - .address_space:  global
        .offset:         0
        .size:           8
        .value_kind:     global_buffer
      - .address_space:  global
        .offset:         8
        .size:           8
        .value_kind:     global_buffer
    .group_segment_fixed_size: 400
    .kernarg_segment_align: 8
    .kernarg_segment_size: 16
    .language:       OpenCL C
    .language_version:
      - 2
      - 0
    .max_flat_workgroup_size: 100
    .name:           _Z17flag_tails_kernelItiN10test_utils7greaterELj100ELj3EEvPT_Px
    .private_segment_fixed_size: 0
    .sgpr_count:     11
    .sgpr_spill_count: 0
    .symbol:         _Z17flag_tails_kernelItiN10test_utils7greaterELj100ELj3EEvPT_Px.kd
    .uniform_work_group_size: 1
    .uses_dynamic_stack: false
    .vgpr_count:     9
    .vgpr_spill_count: 0
    .wavefront_size: 32
  - .args:
      - .address_space:  global
        .offset:         0
        .size:           8
        .value_kind:     global_buffer
      - .address_space:  global
        .offset:         8
        .size:           8
        .value_kind:     global_buffer
    .group_segment_fixed_size: 148
    .kernarg_segment_align: 8
    .kernarg_segment_size: 16
    .language:       OpenCL C
    .language_version:
      - 2
      - 0
    .max_flat_workgroup_size: 37
    .name:           _Z17flag_tails_kernelI12hip_bfloat16iN10test_utils7greaterELj37ELj3EEvPT_Px
    .private_segment_fixed_size: 0
    .sgpr_count:     11
    .sgpr_spill_count: 0
    .symbol:         _Z17flag_tails_kernelI12hip_bfloat16iN10test_utils7greaterELj37ELj3EEvPT_Px.kd
    .uniform_work_group_size: 1
    .uses_dynamic_stack: false
    .vgpr_count:     11
    .vgpr_spill_count: 0
    .wavefront_size: 32
  - .args:
      - .address_space:  global
        .offset:         0
        .size:           8
        .value_kind:     global_buffer
      - .address_space:  global
        .offset:         8
        .size:           8
        .value_kind:     global_buffer
    .group_segment_fixed_size: 148
    .kernarg_segment_align: 8
    .kernarg_segment_size: 16
    .language:       OpenCL C
    .language_version:
      - 2
      - 0
    .max_flat_workgroup_size: 37
    .name:           _Z17flag_tails_kernelI6__halfiN10test_utils7greaterELj37ELj5EEvPT_Px
    .private_segment_fixed_size: 0
    .sgpr_count:     11
    .sgpr_spill_count: 0
    .symbol:         _Z17flag_tails_kernelI6__halfiN10test_utils7greaterELj37ELj5EEvPT_Px.kd
    .uniform_work_group_size: 1
    .uses_dynamic_stack: false
    .vgpr_count:     14
    .vgpr_spill_count: 0
    .wavefront_size: 32
  - .args:
      - .address_space:  global
        .offset:         0
        .size:           8
        .value_kind:     global_buffer
      - .address_space:  global
        .offset:         8
        .size:           8
        .value_kind:     global_buffer
    .group_segment_fixed_size: 7424
    .kernarg_segment_align: 8
    .kernarg_segment_size: 16
    .language:       OpenCL C
    .language_version:
      - 2
      - 0
    .max_flat_workgroup_size: 464
    .name:           _Z17flag_tails_kernelIdjN6hipcub8EqualityELj464ELj2EEvPT_Px
    .private_segment_fixed_size: 0
    .sgpr_count:     13
    .sgpr_spill_count: 0
    .symbol:         _Z17flag_tails_kernelIdjN6hipcub8EqualityELj464ELj2EEvPT_Px.kd
    .uniform_work_group_size: 1
    .uses_dynamic_stack: false
    .vgpr_count:     10
    .vgpr_spill_count: 0
    .wavefront_size: 32
  - .args:
      - .address_space:  global
        .offset:         0
        .size:           8
        .value_kind:     global_buffer
      - .address_space:  global
        .offset:         8
        .size:           8
        .value_kind:     global_buffer
    .group_segment_fixed_size: 528
    .kernarg_segment_align: 8
    .kernarg_segment_size: 16
    .language:       OpenCL C
    .language_version:
      - 2
      - 0
    .max_flat_workgroup_size: 33
    .name:           _Z17flag_tails_kernelIdi15custom_flag_op2IdELj33ELj5EEvPT_Px
    .private_segment_fixed_size: 0
    .sgpr_count:     14
    .sgpr_spill_count: 0
    .symbol:         _Z17flag_tails_kernelIdi15custom_flag_op2IdELj33ELj5EEvPT_Px.kd
    .uniform_work_group_size: 1
    .uses_dynamic_stack: false
    .vgpr_count:     26
    .vgpr_spill_count: 0
    .wavefront_size: 32
  - .args:
      - .address_space:  global
        .offset:         0
        .size:           8
        .value_kind:     global_buffer
      - .address_space:  global
        .offset:         8
        .size:           8
        .value_kind:     global_buffer
    .group_segment_fixed_size: 2048
    .kernarg_segment_align: 8
    .kernarg_segment_size: 16
    .language:       OpenCL C
    .language_version:
      - 2
      - 0
    .max_flat_workgroup_size: 512
    .name:           _Z17flag_tails_kernelIssN6hipcub8EqualityELj512ELj8EEvPT_Px
    .private_segment_fixed_size: 0
    .sgpr_count:     11
    .sgpr_spill_count: 0
    .symbol:         _Z17flag_tails_kernelIssN6hipcub8EqualityELj512ELj8EEvPT_Px.kd
    .uniform_work_group_size: 1
    .uses_dynamic_stack: false
    .vgpr_count:     18
    .vgpr_spill_count: 0
    .wavefront_size: 32
  - .args:
      - .address_space:  global
        .offset:         0
        .size:           8
        .value_kind:     global_buffer
      - .address_space:  global
        .offset:         8
        .size:           8
        .value_kind:     global_buffer
    .group_segment_fixed_size: 1024
    .kernarg_segment_align: 8
    .kernarg_segment_size: 16
    .language:       OpenCL C
    .language_version:
      - 2
      - 0
    .max_flat_workgroup_size: 256
    .name:           _Z17flag_tails_kernelIth15custom_flag_op2ItELj256ELj7EEvPT_Px
    .private_segment_fixed_size: 0
    .sgpr_count:     11
    .sgpr_spill_count: 0
    .symbol:         _Z17flag_tails_kernelIth15custom_flag_op2ItELj256ELj7EEvPT_Px.kd
    .uniform_work_group_size: 1
    .uses_dynamic_stack: false
    .vgpr_count:     19
    .vgpr_spill_count: 0
    .wavefront_size: 32
  - .args:
      - .address_space:  global
        .offset:         0
        .size:           8
        .value_kind:     global_buffer
      - .address_space:  global
        .offset:         8
        .size:           8
        .value_kind:     global_buffer
    .group_segment_fixed_size: 1024
    .kernarg_segment_align: 8
    .kernarg_segment_size: 16
    .language:       OpenCL C
    .language_version:
      - 2
      - 0
    .max_flat_workgroup_size: 128
    .name:           _Z17flag_tails_kernelIisN10test_utils4lessELj128ELj4EEvPT_Px
    .private_segment_fixed_size: 0
    .sgpr_count:     12
    .sgpr_spill_count: 0
    .symbol:         _Z17flag_tails_kernelIisN10test_utils4lessELj128ELj4EEvPT_Px.kd
    .uniform_work_group_size: 1
    .uses_dynamic_stack: false
    .vgpr_count:     10
    .vgpr_spill_count: 0
    .wavefront_size: 32
  - .args:
      - .address_space:  global
        .offset:         0
        .size:           8
        .value_kind:     global_buffer
      - .address_space:  global
        .offset:         8
        .size:           8
        .value_kind:     global_buffer
    .group_segment_fixed_size: 512
    .kernarg_segment_align: 8
    .kernarg_segment_size: 16
    .language:       OpenCL C
    .language_version:
      - 2
      - 0
    .max_flat_workgroup_size: 64
    .name:           _Z17flag_tails_kernelIic15custom_flag_op2IiELj64ELj2EEvPT_Px
    .private_segment_fixed_size: 0
    .sgpr_count:     11
    .sgpr_spill_count: 0
    .symbol:         _Z17flag_tails_kernelIic15custom_flag_op2IiELj64ELj2EEvPT_Px.kd
    .uniform_work_group_size: 1
    .uses_dynamic_stack: false
    .vgpr_count:     7
    .vgpr_spill_count: 0
    .wavefront_size: 32
  - .args:
      - .address_space:  global
        .offset:         0
        .size:           8
        .value_kind:     global_buffer
      - .address_space:  global
        .offset:         8
        .size:           8
        .value_kind:     global_buffer
    .group_segment_fixed_size: 510
    .kernarg_segment_align: 8
    .kernarg_segment_size: 16
    .language:       OpenCL C
    .language_version:
      - 2
      - 0
    .max_flat_workgroup_size: 255
    .name:           _Z17flag_tails_kernelIhbN6hipcub8EqualityELj255ELj1EEvPT_Px
    .private_segment_fixed_size: 0
    .sgpr_count:     11
    .sgpr_spill_count: 0
    .symbol:         _Z17flag_tails_kernelIhbN6hipcub8EqualityELj255ELj1EEvPT_Px.kd
    .uniform_work_group_size: 1
    .uses_dynamic_stack: false
    .vgpr_count:     4
    .vgpr_spill_count: 0
    .wavefront_size: 32
  - .args:
      - .address_space:  global
        .offset:         0
        .size:           8
        .value_kind:     global_buffer
      - .address_space:  global
        .offset:         8
        .size:           8
        .value_kind:     global_buffer
    .group_segment_fixed_size: 1296
    .kernarg_segment_align: 8
    .kernarg_segment_size: 16
    .language:       OpenCL C
    .language_version:
      - 2
      - 0
    .max_flat_workgroup_size: 162
    .name:           _Z17flag_tails_kernelIjxN6hipcub10InequalityELj162ELj1EEvPT_Px
    .private_segment_fixed_size: 0
    .sgpr_count:     11
    .sgpr_spill_count: 0
    .symbol:         _Z17flag_tails_kernelIjxN6hipcub10InequalityELj162ELj1EEvPT_Px.kd
    .uniform_work_group_size: 1
    .uses_dynamic_stack: false
    .vgpr_count:     4
    .vgpr_spill_count: 0
    .wavefront_size: 32
  - .args:
      - .address_space:  global
        .offset:         0
        .size:           8
        .value_kind:     global_buffer
      - .address_space:  global
        .offset:         8
        .size:           8
        .value_kind:     global_buffer
    .group_segment_fixed_size: 8160
    .kernarg_segment_align: 8
    .kernarg_segment_size: 16
    .language:       OpenCL C
    .language_version:
      - 2
      - 0
    .max_flat_workgroup_size: 510
    .name:           _Z17flag_tails_kernelIxcN10test_utils13greater_equalELj510ELj1EEvPT_Px
    .private_segment_fixed_size: 0
    .sgpr_count:     13
    .sgpr_spill_count: 0
    .symbol:         _Z17flag_tails_kernelIxcN10test_utils13greater_equalELj510ELj1EEvPT_Px.kd
    .uniform_work_group_size: 1
    .uses_dynamic_stack: false
    .vgpr_count:     6
    .vgpr_spill_count: 0
    .wavefront_size: 32
  - .args:
      - .address_space:  global
        .offset:         0
        .size:           8
        .value_kind:     global_buffer
      - .address_space:  global
        .offset:         8
        .size:           8
        .value_kind:     global_buffer
    .group_segment_fixed_size: 148
    .kernarg_segment_align: 8
    .kernarg_segment_size: 16
    .language:       OpenCL C
    .language_version:
      - 2
      - 0
    .max_flat_workgroup_size: 37
    .name:           _Z17flag_tails_kernelI12hip_bfloat16iN10test_utils7greaterELj37ELj1EEvPT_Px
    .private_segment_fixed_size: 0
    .sgpr_count:     11
    .sgpr_spill_count: 0
    .symbol:         _Z17flag_tails_kernelI12hip_bfloat16iN10test_utils7greaterELj37ELj1EEvPT_Px.kd
    .uniform_work_group_size: 1
    .uses_dynamic_stack: false
    .vgpr_count:     5
    .vgpr_spill_count: 0
    .wavefront_size: 32
  - .args:
      - .address_space:  global
        .offset:         0
        .size:           8
        .value_kind:     global_buffer
      - .address_space:  global
        .offset:         8
        .size:           8
        .value_kind:     global_buffer
    .group_segment_fixed_size: 148
    .kernarg_segment_align: 8
    .kernarg_segment_size: 16
    .language:       OpenCL C
    .language_version:
      - 2
      - 0
    .max_flat_workgroup_size: 37
    .name:           _Z17flag_tails_kernelI6__halfiN10test_utils7greaterELj37ELj1EEvPT_Px
    .private_segment_fixed_size: 0
    .sgpr_count:     11
    .sgpr_spill_count: 0
    .symbol:         _Z17flag_tails_kernelI6__halfiN10test_utils7greaterELj37ELj1EEvPT_Px.kd
    .uniform_work_group_size: 1
    .uses_dynamic_stack: false
    .vgpr_count:     4
    .vgpr_spill_count: 0
    .wavefront_size: 32
  - .args:
      - .address_space:  global
        .offset:         0
        .size:           8
        .value_kind:     global_buffer
      - .address_space:  global
        .offset:         8
        .size:           8
        .value_kind:     global_buffer
    .group_segment_fixed_size: 296
    .kernarg_segment_align: 8
    .kernarg_segment_size: 16
    .language:       OpenCL C
    .language_version:
      - 2
      - 0
    .max_flat_workgroup_size: 37
    .name:           _Z17flag_tails_kernelIfi15custom_flag_op1IfELj37ELj1EEvPT_Px
    .private_segment_fixed_size: 0
    .sgpr_count:     11
    .sgpr_spill_count: 0
    .symbol:         _Z17flag_tails_kernelIfi15custom_flag_op1IfELj37ELj1EEvPT_Px.kd
    .uniform_work_group_size: 1
    .uses_dynamic_stack: false
    .vgpr_count:     5
    .vgpr_spill_count: 0
    .wavefront_size: 32
  - .args:
      - .address_space:  global
        .offset:         0
        .size:           8
        .value_kind:     global_buffer
      - .address_space:  global
        .offset:         8
        .size:           8
        .value_kind:     global_buffer
    .group_segment_fixed_size: 1040
    .kernarg_segment_align: 8
    .kernarg_segment_size: 16
    .language:       OpenCL C
    .language_version:
      - 2
      - 0
    .max_flat_workgroup_size: 65
    .name:           _Z17flag_tails_kernelIdjN10test_utils7greaterELj65ELj1EEvPT_Px
    .private_segment_fixed_size: 0
    .sgpr_count:     13
    .sgpr_spill_count: 0
    .symbol:         _Z17flag_tails_kernelIdjN10test_utils7greaterELj65ELj1EEvPT_Px.kd
    .uniform_work_group_size: 1
    .uses_dynamic_stack: false
    .vgpr_count:     6
    .vgpr_spill_count: 0
    .wavefront_size: 32
  - .args:
      - .address_space:  global
        .offset:         0
        .size:           8
        .value_kind:     global_buffer
      - .address_space:  global
        .offset:         8
        .size:           8
        .value_kind:     global_buffer
    .group_segment_fixed_size: 2048
    .kernarg_segment_align: 8
    .kernarg_segment_size: 16
    .language:       OpenCL C
    .language_version:
      - 2
      - 0
    .max_flat_workgroup_size: 256
    .name:           _Z17flag_tails_kernelIib15custom_flag_op1IiELj256ELj1EEvPT_Px
    .private_segment_fixed_size: 0
    .sgpr_count:     11
    .sgpr_spill_count: 0
    .symbol:         _Z17flag_tails_kernelIib15custom_flag_op1IiELj256ELj1EEvPT_Px.kd
    .uniform_work_group_size: 1
    .uses_dynamic_stack: false
    .vgpr_count:     5
    .vgpr_spill_count: 0
    .wavefront_size: 32
  - .args:
      - .address_space:  global
        .offset:         0
        .size:           8
        .value_kind:     global_buffer
      - .address_space:  global
        .offset:         8
        .size:           8
        .value_kind:     global_buffer
    .group_segment_fixed_size: 2048
    .kernarg_segment_align: 8
    .kernarg_segment_size: 16
    .language:       OpenCL C
    .language_version:
      - 2
      - 0
    .max_flat_workgroup_size: 1024
    .name:           _Z17flag_tails_kernelIccN10test_utils10less_equalELj1024ELj1EEvPT_Px
    .private_segment_fixed_size: 0
    .sgpr_count:     11
    .sgpr_spill_count: 0
    .symbol:         _Z17flag_tails_kernelIccN10test_utils10less_equalELj1024ELj1EEvPT_Px.kd
    .uniform_work_group_size: 1
    .uses_dynamic_stack: false
    .vgpr_count:     4
    .vgpr_spill_count: 0
    .wavefront_size: 32
  - .args:
      - .address_space:  global
        .offset:         0
        .size:           8
        .value_kind:     global_buffer
      - .address_space:  global
        .offset:         8
        .size:           8
        .value_kind:     global_buffer
    .group_segment_fixed_size: 1024
    .kernarg_segment_align: 8
    .kernarg_segment_size: 16
    .language:       OpenCL C
    .language_version:
      - 2
      - 0
    .max_flat_workgroup_size: 256
    .name:           _Z17flag_tails_kernelI12hip_bfloat16iN10test_utils4lessELj256ELj1EEvPT_Px
    .private_segment_fixed_size: 0
    .sgpr_count:     11
    .sgpr_spill_count: 0
    .symbol:         _Z17flag_tails_kernelI12hip_bfloat16iN10test_utils4lessELj256ELj1EEvPT_Px.kd
    .uniform_work_group_size: 1
    .uses_dynamic_stack: false
    .vgpr_count:     5
    .vgpr_spill_count: 0
    .wavefront_size: 32
  - .args:
      - .address_space:  global
        .offset:         0
        .size:           8
        .value_kind:     global_buffer
      - .address_space:  global
        .offset:         8
        .size:           8
        .value_kind:     global_buffer
    .group_segment_fixed_size: 1024
    .kernarg_segment_align: 8
    .kernarg_segment_size: 16
    .language:       OpenCL C
    .language_version:
      - 2
      - 0
    .max_flat_workgroup_size: 256
    .name:           _Z17flag_tails_kernelI6__halfiN10test_utils4lessELj256ELj1EEvPT_Px
    .private_segment_fixed_size: 0
    .sgpr_count:     11
    .sgpr_spill_count: 0
    .symbol:         _Z17flag_tails_kernelI6__halfiN10test_utils4lessELj256ELj1EEvPT_Px.kd
    .uniform_work_group_size: 1
    .uses_dynamic_stack: false
    .vgpr_count:     4
    .vgpr_spill_count: 0
    .wavefront_size: 32
  - .args:
      - .address_space:  global
        .offset:         0
        .size:           8
        .value_kind:     global_buffer
      - .address_space:  global
        .offset:         8
        .size:           8
        .value_kind:     global_buffer
    .group_segment_fixed_size: 2048
    .kernarg_segment_align: 8
    .kernarg_segment_size: 16
    .language:       OpenCL C
    .language_version:
      - 2
      - 0
    .max_flat_workgroup_size: 256
    .name:           _Z17flag_tails_kernelIfiN10test_utils4lessELj256ELj1EEvPT_Px
    .private_segment_fixed_size: 0
    .sgpr_count:     11
    .sgpr_spill_count: 0
    .symbol:         _Z17flag_tails_kernelIfiN10test_utils4lessELj256ELj1EEvPT_Px.kd
    .uniform_work_group_size: 1
    .uses_dynamic_stack: false
    .vgpr_count:     4
    .vgpr_spill_count: 0
    .wavefront_size: 32
  - .args:
      - .address_space:  global
        .offset:         0
        .size:           8
        .value_kind:     global_buffer
      - .address_space:  global
        .offset:         8
        .size:           8
        .value_kind:     global_buffer
    .group_segment_fixed_size: 1024
    .kernarg_segment_align: 8
    .kernarg_segment_size: 16
    .language:       OpenCL C
    .language_version:
      - 2
      - 0
    .max_flat_workgroup_size: 128
    .name:           _Z17flag_tails_kernelIibN6hipcub10InequalityELj128ELj1EEvPT_Px
    .private_segment_fixed_size: 0
    .sgpr_count:     11
    .sgpr_spill_count: 0
    .symbol:         _Z17flag_tails_kernelIibN6hipcub10InequalityELj128ELj1EEvPT_Px.kd
    .uniform_work_group_size: 1
    .uses_dynamic_stack: false
    .vgpr_count:     4
    .vgpr_spill_count: 0
    .wavefront_size: 32
  - .args:
      - .address_space:  global
        .offset:         0
        .size:           8
        .value_kind:     global_buffer
      - .address_space:  global
        .offset:         8
        .size:           8
        .value_kind:     global_buffer
    .group_segment_fixed_size: 512
    .kernarg_segment_align: 8
    .kernarg_segment_size: 16
    .language:       OpenCL C
    .language_version:
      - 2
      - 0
    .max_flat_workgroup_size: 64
    .name:           _Z17flag_tails_kernelIjiN6hipcub8EqualityELj64ELj1EEvPT_Px
    .private_segment_fixed_size: 0
    .sgpr_count:     11
    .sgpr_spill_count: 0
    .symbol:         _Z17flag_tails_kernelIjiN6hipcub8EqualityELj64ELj1EEvPT_Px.kd
    .uniform_work_group_size: 1
    .uses_dynamic_stack: false
    .vgpr_count:     4
    .vgpr_spill_count: 0
    .wavefront_size: 32
  - .args:
      - .address_space:  global
        .offset:         0
        .size:           8
        .value_kind:     global_buffer
      - .address_space:  global
        .offset:         8
        .size:           8
        .value_kind:     global_buffer
      - .address_space:  global
        .offset:         16
        .size:           8
        .value_kind:     global_buffer
    .group_segment_fixed_size: 936
    .kernarg_segment_align: 8
    .kernarg_segment_size: 24
    .language:       OpenCL C
    .language_version:
      - 2
      - 0
    .max_flat_workgroup_size: 234
    .name:           _Z27flag_heads_and_tails_kernelIsb15custom_flag_op1IsELj234ELj9EEvPT_PxS4_
    .private_segment_fixed_size: 0
    .sgpr_count:     30
    .sgpr_spill_count: 0
    .symbol:         _Z27flag_heads_and_tails_kernelIsb15custom_flag_op1IsELj234ELj9EEvPT_PxS4_.kd
    .uniform_work_group_size: 1
    .uses_dynamic_stack: false
    .vgpr_count:     24
    .vgpr_spill_count: 0
    .wavefront_size: 32
  - .args:
      - .address_space:  global
        .offset:         0
        .size:           8
        .value_kind:     global_buffer
      - .address_space:  global
        .offset:         8
        .size:           8
        .value_kind:     global_buffer
      - .address_space:  global
        .offset:         16
        .size:           8
        .value_kind:     global_buffer
    .group_segment_fixed_size: 400
    .kernarg_segment_align: 8
    .kernarg_segment_size: 24
    .language:       OpenCL C
    .language_version:
      - 2
      - 0
    .max_flat_workgroup_size: 100
    .name:           _Z27flag_heads_and_tails_kernelItiN10test_utils7greaterELj100ELj3EEvPT_PxS4_
    .private_segment_fixed_size: 0
    .sgpr_count:     15
    .sgpr_spill_count: 0
    .symbol:         _Z27flag_heads_and_tails_kernelItiN10test_utils7greaterELj100ELj3EEvPT_PxS4_.kd
    .uniform_work_group_size: 1
    .uses_dynamic_stack: false
    .vgpr_count:     12
    .vgpr_spill_count: 0
    .wavefront_size: 32
  - .args:
      - .address_space:  global
        .offset:         0
        .size:           8
        .value_kind:     global_buffer
      - .address_space:  global
        .offset:         8
        .size:           8
        .value_kind:     global_buffer
      - .address_space:  global
        .offset:         16
        .size:           8
        .value_kind:     global_buffer
    .group_segment_fixed_size: 148
    .kernarg_segment_align: 8
    .kernarg_segment_size: 24
    .language:       OpenCL C
    .language_version:
      - 2
      - 0
    .max_flat_workgroup_size: 37
    .name:           _Z27flag_heads_and_tails_kernelI12hip_bfloat16iN10test_utils7greaterELj37ELj3EEvPT_PxS5_
    .private_segment_fixed_size: 0
    .sgpr_count:     15
    .sgpr_spill_count: 0
    .symbol:         _Z27flag_heads_and_tails_kernelI12hip_bfloat16iN10test_utils7greaterELj37ELj3EEvPT_PxS5_.kd
    .uniform_work_group_size: 1
    .uses_dynamic_stack: false
    .vgpr_count:     16
    .vgpr_spill_count: 0
    .wavefront_size: 32
  - .args:
      - .address_space:  global
        .offset:         0
        .size:           8
        .value_kind:     global_buffer
      - .address_space:  global
        .offset:         8
        .size:           8
        .value_kind:     global_buffer
      - .address_space:  global
        .offset:         16
        .size:           8
        .value_kind:     global_buffer
    .group_segment_fixed_size: 148
    .kernarg_segment_align: 8
    .kernarg_segment_size: 24
    .language:       OpenCL C
    .language_version:
      - 2
      - 0
    .max_flat_workgroup_size: 37
    .name:           _Z27flag_heads_and_tails_kernelI6__halfiN10test_utils7greaterELj37ELj5EEvPT_PxS5_
    .private_segment_fixed_size: 0
    .sgpr_count:     17
    .sgpr_spill_count: 0
    .symbol:         _Z27flag_heads_and_tails_kernelI6__halfiN10test_utils7greaterELj37ELj5EEvPT_PxS5_.kd
    .uniform_work_group_size: 1
    .uses_dynamic_stack: false
    .vgpr_count:     20
    .vgpr_spill_count: 0
    .wavefront_size: 32
  - .args:
      - .address_space:  global
        .offset:         0
        .size:           8
        .value_kind:     global_buffer
      - .address_space:  global
        .offset:         8
        .size:           8
        .value_kind:     global_buffer
      - .address_space:  global
        .offset:         16
        .size:           8
        .value_kind:     global_buffer
    .group_segment_fixed_size: 7424
    .kernarg_segment_align: 8
    .kernarg_segment_size: 24
    .language:       OpenCL C
    .language_version:
      - 2
      - 0
    .max_flat_workgroup_size: 464
    .name:           _Z27flag_heads_and_tails_kernelIdjN6hipcub8EqualityELj464ELj2EEvPT_PxS4_
    .private_segment_fixed_size: 0
    .sgpr_count:     16
    .sgpr_spill_count: 0
    .symbol:         _Z27flag_heads_and_tails_kernelIdjN6hipcub8EqualityELj464ELj2EEvPT_PxS4_.kd
    .uniform_work_group_size: 1
    .uses_dynamic_stack: false
    .vgpr_count:     13
    .vgpr_spill_count: 0
    .wavefront_size: 32
  - .args:
      - .address_space:  global
        .offset:         0
        .size:           8
        .value_kind:     global_buffer
      - .address_space:  global
        .offset:         8
        .size:           8
        .value_kind:     global_buffer
      - .address_space:  global
        .offset:         16
        .size:           8
        .value_kind:     global_buffer
    .group_segment_fixed_size: 528
    .kernarg_segment_align: 8
    .kernarg_segment_size: 24
    .language:       OpenCL C
    .language_version:
      - 2
      - 0
    .max_flat_workgroup_size: 33
    .name:           _Z27flag_heads_and_tails_kernelIdi15custom_flag_op2IdELj33ELj5EEvPT_PxS4_
    .private_segment_fixed_size: 0
    .sgpr_count:     18
    .sgpr_spill_count: 0
    .symbol:         _Z27flag_heads_and_tails_kernelIdi15custom_flag_op2IdELj33ELj5EEvPT_PxS4_.kd
    .uniform_work_group_size: 1
    .uses_dynamic_stack: false
    .vgpr_count:     28
    .vgpr_spill_count: 0
    .wavefront_size: 32
  - .args:
      - .address_space:  global
        .offset:         0
        .size:           8
        .value_kind:     global_buffer
      - .address_space:  global
        .offset:         8
        .size:           8
        .value_kind:     global_buffer
      - .address_space:  global
        .offset:         16
        .size:           8
        .value_kind:     global_buffer
    .group_segment_fixed_size: 2048
    .kernarg_segment_align: 8
    .kernarg_segment_size: 24
    .language:       OpenCL C
    .language_version:
      - 2
      - 0
    .max_flat_workgroup_size: 512
    .name:           _Z27flag_heads_and_tails_kernelIssN6hipcub8EqualityELj512ELj8EEvPT_PxS4_
    .private_segment_fixed_size: 0
    .sgpr_count:     18
    .sgpr_spill_count: 0
    .symbol:         _Z27flag_heads_and_tails_kernelIssN6hipcub8EqualityELj512ELj8EEvPT_PxS4_.kd
    .uniform_work_group_size: 1
    .uses_dynamic_stack: false
    .vgpr_count:     27
    .vgpr_spill_count: 0
    .wavefront_size: 32
  - .args:
      - .address_space:  global
        .offset:         0
        .size:           8
        .value_kind:     global_buffer
      - .address_space:  global
        .offset:         8
        .size:           8
        .value_kind:     global_buffer
      - .address_space:  global
        .offset:         16
        .size:           8
        .value_kind:     global_buffer
    .group_segment_fixed_size: 1024
    .kernarg_segment_align: 8
    .kernarg_segment_size: 24
    .language:       OpenCL C
    .language_version:
      - 2
      - 0
    .max_flat_workgroup_size: 256
    .name:           _Z27flag_heads_and_tails_kernelIth15custom_flag_op2ItELj256ELj7EEvPT_PxS4_
    .private_segment_fixed_size: 0
    .sgpr_count:     15
    .sgpr_spill_count: 0
    .symbol:         _Z27flag_heads_and_tails_kernelIth15custom_flag_op2ItELj256ELj7EEvPT_PxS4_.kd
    .uniform_work_group_size: 1
    .uses_dynamic_stack: false
    .vgpr_count:     22
    .vgpr_spill_count: 0
    .wavefront_size: 32
  - .args:
      - .address_space:  global
        .offset:         0
        .size:           8
        .value_kind:     global_buffer
      - .address_space:  global
        .offset:         8
        .size:           8
        .value_kind:     global_buffer
      - .address_space:  global
        .offset:         16
        .size:           8
        .value_kind:     global_buffer
    .group_segment_fixed_size: 1024
    .kernarg_segment_align: 8
    .kernarg_segment_size: 24
    .language:       OpenCL C
    .language_version:
      - 2
      - 0
    .max_flat_workgroup_size: 128
    .name:           _Z27flag_heads_and_tails_kernelIisN10test_utils4lessELj128ELj4EEvPT_PxS4_
    .private_segment_fixed_size: 0
    .sgpr_count:     15
    .sgpr_spill_count: 0
    .symbol:         _Z27flag_heads_and_tails_kernelIisN10test_utils4lessELj128ELj4EEvPT_PxS4_.kd
    .uniform_work_group_size: 1
    .uses_dynamic_stack: false
    .vgpr_count:     17
    .vgpr_spill_count: 0
    .wavefront_size: 32
  - .args:
      - .address_space:  global
        .offset:         0
        .size:           8
        .value_kind:     global_buffer
      - .address_space:  global
        .offset:         8
        .size:           8
        .value_kind:     global_buffer
      - .address_space:  global
        .offset:         16
        .size:           8
        .value_kind:     global_buffer
    .group_segment_fixed_size: 512
    .kernarg_segment_align: 8
    .kernarg_segment_size: 24
    .language:       OpenCL C
    .language_version:
      - 2
      - 0
    .max_flat_workgroup_size: 64
    .name:           _Z27flag_heads_and_tails_kernelIic15custom_flag_op2IiELj64ELj2EEvPT_PxS4_
    .private_segment_fixed_size: 0
    .sgpr_count:     15
    .sgpr_spill_count: 0
    .symbol:         _Z27flag_heads_and_tails_kernelIic15custom_flag_op2IiELj64ELj2EEvPT_PxS4_.kd
    .uniform_work_group_size: 1
    .uses_dynamic_stack: false
    .vgpr_count:     9
    .vgpr_spill_count: 0
    .wavefront_size: 32
  - .args:
      - .address_space:  global
        .offset:         0
        .size:           8
        .value_kind:     global_buffer
      - .address_space:  global
        .offset:         8
        .size:           8
        .value_kind:     global_buffer
      - .address_space:  global
        .offset:         16
        .size:           8
        .value_kind:     global_buffer
    .group_segment_fixed_size: 510
    .kernarg_segment_align: 8
    .kernarg_segment_size: 24
    .language:       OpenCL C
    .language_version:
      - 2
      - 0
    .max_flat_workgroup_size: 255
    .name:           _Z27flag_heads_and_tails_kernelIhbN6hipcub8EqualityELj255ELj1EEvPT_PxS4_
    .private_segment_fixed_size: 0
    .sgpr_count:     14
    .sgpr_spill_count: 0
    .symbol:         _Z27flag_heads_and_tails_kernelIhbN6hipcub8EqualityELj255ELj1EEvPT_PxS4_.kd
    .uniform_work_group_size: 1
    .uses_dynamic_stack: false
    .vgpr_count:     6
    .vgpr_spill_count: 0
    .wavefront_size: 32
  - .args:
      - .address_space:  global
        .offset:         0
        .size:           8
        .value_kind:     global_buffer
      - .address_space:  global
        .offset:         8
        .size:           8
        .value_kind:     global_buffer
      - .address_space:  global
        .offset:         16
        .size:           8
        .value_kind:     global_buffer
    .group_segment_fixed_size: 1296
    .kernarg_segment_align: 8
    .kernarg_segment_size: 24
    .language:       OpenCL C
    .language_version:
      - 2
      - 0
    .max_flat_workgroup_size: 162
    .name:           _Z27flag_heads_and_tails_kernelIjxN6hipcub10InequalityELj162ELj1EEvPT_PxS4_
    .private_segment_fixed_size: 0
    .sgpr_count:     14
    .sgpr_spill_count: 0
    .symbol:         _Z27flag_heads_and_tails_kernelIjxN6hipcub10InequalityELj162ELj1EEvPT_PxS4_.kd
    .uniform_work_group_size: 1
    .uses_dynamic_stack: false
    .vgpr_count:     6
    .vgpr_spill_count: 0
    .wavefront_size: 32
  - .args:
      - .address_space:  global
        .offset:         0
        .size:           8
        .value_kind:     global_buffer
      - .address_space:  global
        .offset:         8
        .size:           8
        .value_kind:     global_buffer
      - .address_space:  global
        .offset:         16
        .size:           8
        .value_kind:     global_buffer
    .group_segment_fixed_size: 8160
    .kernarg_segment_align: 8
    .kernarg_segment_size: 24
    .language:       OpenCL C
    .language_version:
      - 2
      - 0
    .max_flat_workgroup_size: 510
    .name:           _Z27flag_heads_and_tails_kernelIxcN10test_utils13greater_equalELj510ELj1EEvPT_PxS4_
    .private_segment_fixed_size: 0
    .sgpr_count:     16
    .sgpr_spill_count: 0
    .symbol:         _Z27flag_heads_and_tails_kernelIxcN10test_utils13greater_equalELj510ELj1EEvPT_PxS4_.kd
    .uniform_work_group_size: 1
    .uses_dynamic_stack: false
    .vgpr_count:     9
    .vgpr_spill_count: 0
    .wavefront_size: 32
  - .args:
      - .address_space:  global
        .offset:         0
        .size:           8
        .value_kind:     global_buffer
      - .address_space:  global
        .offset:         8
        .size:           8
        .value_kind:     global_buffer
      - .address_space:  global
        .offset:         16
        .size:           8
        .value_kind:     global_buffer
    .group_segment_fixed_size: 148
    .kernarg_segment_align: 8
    .kernarg_segment_size: 24
    .language:       OpenCL C
    .language_version:
      - 2
      - 0
    .max_flat_workgroup_size: 37
    .name:           _Z27flag_heads_and_tails_kernelI12hip_bfloat16iN10test_utils7greaterELj37ELj1EEvPT_PxS5_
    .private_segment_fixed_size: 0
    .sgpr_count:     15
    .sgpr_spill_count: 0
    .symbol:         _Z27flag_heads_and_tails_kernelI12hip_bfloat16iN10test_utils7greaterELj37ELj1EEvPT_PxS5_.kd
    .uniform_work_group_size: 1
    .uses_dynamic_stack: false
    .vgpr_count:     7
    .vgpr_spill_count: 0
    .wavefront_size: 32
  - .args:
      - .address_space:  global
        .offset:         0
        .size:           8
        .value_kind:     global_buffer
      - .address_space:  global
        .offset:         8
        .size:           8
        .value_kind:     global_buffer
      - .address_space:  global
        .offset:         16
        .size:           8
        .value_kind:     global_buffer
    .group_segment_fixed_size: 148
    .kernarg_segment_align: 8
    .kernarg_segment_size: 24
    .language:       OpenCL C
    .language_version:
      - 2
      - 0
    .max_flat_workgroup_size: 37
    .name:           _Z27flag_heads_and_tails_kernelI6__halfiN10test_utils7greaterELj37ELj1EEvPT_PxS5_
    .private_segment_fixed_size: 0
    .sgpr_count:     15
    .sgpr_spill_count: 0
    .symbol:         _Z27flag_heads_and_tails_kernelI6__halfiN10test_utils7greaterELj37ELj1EEvPT_PxS5_.kd
    .uniform_work_group_size: 1
    .uses_dynamic_stack: false
    .vgpr_count:     7
    .vgpr_spill_count: 0
    .wavefront_size: 32
  - .args:
      - .address_space:  global
        .offset:         0
        .size:           8
        .value_kind:     global_buffer
      - .address_space:  global
        .offset:         8
        .size:           8
        .value_kind:     global_buffer
      - .address_space:  global
        .offset:         16
        .size:           8
        .value_kind:     global_buffer
    .group_segment_fixed_size: 296
    .kernarg_segment_align: 8
    .kernarg_segment_size: 24
    .language:       OpenCL C
    .language_version:
      - 2
      - 0
    .max_flat_workgroup_size: 37
    .name:           _Z27flag_heads_and_tails_kernelIfi15custom_flag_op1IfELj37ELj1EEvPT_PxS4_
    .private_segment_fixed_size: 0
    .sgpr_count:     14
    .sgpr_spill_count: 0
    .symbol:         _Z27flag_heads_and_tails_kernelIfi15custom_flag_op1IfELj37ELj1EEvPT_PxS4_.kd
    .uniform_work_group_size: 1
    .uses_dynamic_stack: false
    .vgpr_count:     6
    .vgpr_spill_count: 0
    .wavefront_size: 32
  - .args:
      - .address_space:  global
        .offset:         0
        .size:           8
        .value_kind:     global_buffer
      - .address_space:  global
        .offset:         8
        .size:           8
        .value_kind:     global_buffer
      - .address_space:  global
        .offset:         16
        .size:           8
        .value_kind:     global_buffer
    .group_segment_fixed_size: 1040
    .kernarg_segment_align: 8
    .kernarg_segment_size: 24
    .language:       OpenCL C
    .language_version:
      - 2
      - 0
    .max_flat_workgroup_size: 65
    .name:           _Z27flag_heads_and_tails_kernelIdjN10test_utils7greaterELj65ELj1EEvPT_PxS4_
    .private_segment_fixed_size: 0
    .sgpr_count:     16
    .sgpr_spill_count: 0
    .symbol:         _Z27flag_heads_and_tails_kernelIdjN10test_utils7greaterELj65ELj1EEvPT_PxS4_.kd
    .uniform_work_group_size: 1
    .uses_dynamic_stack: false
    .vgpr_count:     8
    .vgpr_spill_count: 0
    .wavefront_size: 32
  - .args:
      - .address_space:  global
        .offset:         0
        .size:           8
        .value_kind:     global_buffer
      - .address_space:  global
        .offset:         8
        .size:           8
        .value_kind:     global_buffer
      - .address_space:  global
        .offset:         16
        .size:           8
        .value_kind:     global_buffer
    .group_segment_fixed_size: 2048
    .kernarg_segment_align: 8
    .kernarg_segment_size: 24
    .language:       OpenCL C
    .language_version:
      - 2
      - 0
    .max_flat_workgroup_size: 256
    .name:           _Z27flag_heads_and_tails_kernelIib15custom_flag_op1IiELj256ELj1EEvPT_PxS4_
    .private_segment_fixed_size: 0
    .sgpr_count:     15
    .sgpr_spill_count: 0
    .symbol:         _Z27flag_heads_and_tails_kernelIib15custom_flag_op1IiELj256ELj1EEvPT_PxS4_.kd
    .uniform_work_group_size: 1
    .uses_dynamic_stack: false
    .vgpr_count:     6
    .vgpr_spill_count: 0
    .wavefront_size: 32
  - .args:
      - .address_space:  global
        .offset:         0
        .size:           8
        .value_kind:     global_buffer
      - .address_space:  global
        .offset:         8
        .size:           8
        .value_kind:     global_buffer
      - .address_space:  global
        .offset:         16
        .size:           8
        .value_kind:     global_buffer
    .group_segment_fixed_size: 2048
    .kernarg_segment_align: 8
    .kernarg_segment_size: 24
    .language:       OpenCL C
    .language_version:
      - 2
      - 0
    .max_flat_workgroup_size: 1024
    .name:           _Z27flag_heads_and_tails_kernelIccN10test_utils10less_equalELj1024ELj1EEvPT_PxS4_
    .private_segment_fixed_size: 0
    .sgpr_count:     14
    .sgpr_spill_count: 0
    .symbol:         _Z27flag_heads_and_tails_kernelIccN10test_utils10less_equalELj1024ELj1EEvPT_PxS4_.kd
    .uniform_work_group_size: 1
    .uses_dynamic_stack: false
    .vgpr_count:     6
    .vgpr_spill_count: 0
    .wavefront_size: 32
  - .args:
      - .address_space:  global
        .offset:         0
        .size:           8
        .value_kind:     global_buffer
      - .address_space:  global
        .offset:         8
        .size:           8
        .value_kind:     global_buffer
      - .address_space:  global
        .offset:         16
        .size:           8
        .value_kind:     global_buffer
    .group_segment_fixed_size: 1024
    .kernarg_segment_align: 8
    .kernarg_segment_size: 24
    .language:       OpenCL C
    .language_version:
      - 2
      - 0
    .max_flat_workgroup_size: 256
    .name:           _Z27flag_heads_and_tails_kernelI12hip_bfloat16iN10test_utils4lessELj256ELj1EEvPT_PxS5_
    .private_segment_fixed_size: 0
    .sgpr_count:     15
    .sgpr_spill_count: 0
    .symbol:         _Z27flag_heads_and_tails_kernelI12hip_bfloat16iN10test_utils4lessELj256ELj1EEvPT_PxS5_.kd
    .uniform_work_group_size: 1
    .uses_dynamic_stack: false
    .vgpr_count:     7
    .vgpr_spill_count: 0
    .wavefront_size: 32
  - .args:
      - .address_space:  global
        .offset:         0
        .size:           8
        .value_kind:     global_buffer
      - .address_space:  global
        .offset:         8
        .size:           8
        .value_kind:     global_buffer
      - .address_space:  global
        .offset:         16
        .size:           8
        .value_kind:     global_buffer
    .group_segment_fixed_size: 1024
    .kernarg_segment_align: 8
    .kernarg_segment_size: 24
    .language:       OpenCL C
    .language_version:
      - 2
      - 0
    .max_flat_workgroup_size: 256
    .name:           _Z27flag_heads_and_tails_kernelI6__halfiN10test_utils4lessELj256ELj1EEvPT_PxS5_
    .private_segment_fixed_size: 0
    .sgpr_count:     15
    .sgpr_spill_count: 0
    .symbol:         _Z27flag_heads_and_tails_kernelI6__halfiN10test_utils4lessELj256ELj1EEvPT_PxS5_.kd
    .uniform_work_group_size: 1
    .uses_dynamic_stack: false
    .vgpr_count:     7
    .vgpr_spill_count: 0
    .wavefront_size: 32
  - .args:
      - .address_space:  global
        .offset:         0
        .size:           8
        .value_kind:     global_buffer
      - .address_space:  global
        .offset:         8
        .size:           8
        .value_kind:     global_buffer
      - .address_space:  global
        .offset:         16
        .size:           8
        .value_kind:     global_buffer
    .group_segment_fixed_size: 2048
    .kernarg_segment_align: 8
    .kernarg_segment_size: 24
    .language:       OpenCL C
    .language_version:
      - 2
      - 0
    .max_flat_workgroup_size: 256
    .name:           _Z27flag_heads_and_tails_kernelIfiN10test_utils4lessELj256ELj1EEvPT_PxS4_
    .private_segment_fixed_size: 0
    .sgpr_count:     15
    .sgpr_spill_count: 0
    .symbol:         _Z27flag_heads_and_tails_kernelIfiN10test_utils4lessELj256ELj1EEvPT_PxS4_.kd
    .uniform_work_group_size: 1
    .uses_dynamic_stack: false
    .vgpr_count:     6
    .vgpr_spill_count: 0
    .wavefront_size: 32
  - .args:
      - .address_space:  global
        .offset:         0
        .size:           8
        .value_kind:     global_buffer
      - .address_space:  global
        .offset:         8
        .size:           8
        .value_kind:     global_buffer
      - .address_space:  global
        .offset:         16
        .size:           8
        .value_kind:     global_buffer
    .group_segment_fixed_size: 1024
    .kernarg_segment_align: 8
    .kernarg_segment_size: 24
    .language:       OpenCL C
    .language_version:
      - 2
      - 0
    .max_flat_workgroup_size: 128
    .name:           _Z27flag_heads_and_tails_kernelIibN6hipcub10InequalityELj128ELj1EEvPT_PxS4_
    .private_segment_fixed_size: 0
    .sgpr_count:     15
    .sgpr_spill_count: 0
    .symbol:         _Z27flag_heads_and_tails_kernelIibN6hipcub10InequalityELj128ELj1EEvPT_PxS4_.kd
    .uniform_work_group_size: 1
    .uses_dynamic_stack: false
    .vgpr_count:     6
    .vgpr_spill_count: 0
    .wavefront_size: 32
  - .args:
      - .address_space:  global
        .offset:         0
        .size:           8
        .value_kind:     global_buffer
      - .address_space:  global
        .offset:         8
        .size:           8
        .value_kind:     global_buffer
      - .address_space:  global
        .offset:         16
        .size:           8
        .value_kind:     global_buffer
    .group_segment_fixed_size: 512
    .kernarg_segment_align: 8
    .kernarg_segment_size: 24
    .language:       OpenCL C
    .language_version:
      - 2
      - 0
    .max_flat_workgroup_size: 64
    .name:           _Z27flag_heads_and_tails_kernelIjiN6hipcub8EqualityELj64ELj1EEvPT_PxS4_
    .private_segment_fixed_size: 0
    .sgpr_count:     15
    .sgpr_spill_count: 0
    .symbol:         _Z27flag_heads_and_tails_kernelIjiN6hipcub8EqualityELj64ELj1EEvPT_PxS4_.kd
    .uniform_work_group_size: 1
    .uses_dynamic_stack: false
    .vgpr_count:     6
    .vgpr_spill_count: 0
    .wavefront_size: 32
  - .args:
      - .address_space:  global
        .offset:         0
        .size:           8
        .value_kind:     global_buffer
      - .address_space:  global
        .offset:         8
        .size:           8
        .value_kind:     global_buffer
    .group_segment_fixed_size: 936
    .kernarg_segment_align: 8
    .kernarg_segment_size: 16
    .language:       OpenCL C
    .language_version:
      - 2
      - 0
    .max_flat_workgroup_size: 234
    .name:           _Z20subtract_left_kernelIsbi10custom_op2Lj234ELj9EEvPKT_PT1_
    .private_segment_fixed_size: 0
    .sgpr_count:     11
    .sgpr_spill_count: 0
    .symbol:         _Z20subtract_left_kernelIsbi10custom_op2Lj234ELj9EEvPKT_PT1_.kd
    .uniform_work_group_size: 1
    .uses_dynamic_stack: false
    .vgpr_count:     19
    .vgpr_spill_count: 0
    .wavefront_size: 32
  - .args:
      - .address_space:  global
        .offset:         0
        .size:           8
        .value_kind:     global_buffer
      - .address_space:  global
        .offset:         8
        .size:           8
        .value_kind:     global_buffer
    .group_segment_fixed_size: 400
    .kernarg_segment_align: 8
    .kernarg_segment_size: 16
    .language:       OpenCL C
    .language_version:
      - 2
      - 0
    .max_flat_workgroup_size: 100
    .name:           _Z20subtract_left_kernelItii10custom_op1Lj100ELj3EEvPKT_PT1_
    .private_segment_fixed_size: 0
    .sgpr_count:     9
    .sgpr_spill_count: 0
    .symbol:         _Z20subtract_left_kernelItii10custom_op1Lj100ELj3EEvPKT_PT1_.kd
    .uniform_work_group_size: 1
    .uses_dynamic_stack: false
    .vgpr_count:     8
    .vgpr_spill_count: 0
    .wavefront_size: 32
  - .args:
      - .address_space:  global
        .offset:         0
        .size:           8
        .value_kind:     global_buffer
      - .address_space:  global
        .offset:         8
        .size:           8
        .value_kind:     global_buffer
    .group_segment_fixed_size: 7424
    .kernarg_segment_align: 8
    .kernarg_segment_size: 16
    .language:       OpenCL C
    .language_version:
      - 2
      - 0
    .max_flat_workgroup_size: 464
    .name:           _Z20subtract_left_kernelIdjjN6hipcub3SumELj464ELj2EEvPKT_PT1_
    .private_segment_fixed_size: 0
    .sgpr_count:     11
    .sgpr_spill_count: 0
    .symbol:         _Z20subtract_left_kernelIdjjN6hipcub3SumELj464ELj2EEvPKT_PT1_.kd
    .uniform_work_group_size: 1
    .uses_dynamic_stack: false
    .vgpr_count:     14
    .vgpr_spill_count: 0
    .wavefront_size: 32
  - .args:
      - .address_space:  global
        .offset:         0
        .size:           8
        .value_kind:     global_buffer
      - .address_space:  global
        .offset:         8
        .size:           8
        .value_kind:     global_buffer
    .group_segment_fixed_size: 528
    .kernarg_segment_align: 8
    .kernarg_segment_size: 16
    .language:       OpenCL C
    .language_version:
      - 2
      - 0
    .max_flat_workgroup_size: 33
    .name:           _Z20subtract_left_kernelIdii10custom_op2Lj33ELj5EEvPKT_PT1_
    .private_segment_fixed_size: 0
    .sgpr_count:     11
    .sgpr_spill_count: 0
    .symbol:         _Z20subtract_left_kernelIdii10custom_op2Lj33ELj5EEvPKT_PT1_.kd
    .uniform_work_group_size: 1
    .uses_dynamic_stack: false
    .vgpr_count:     28
    .vgpr_spill_count: 0
    .wavefront_size: 32
  - .args:
      - .address_space:  global
        .offset:         0
        .size:           8
        .value_kind:     global_buffer
      - .address_space:  global
        .offset:         8
        .size:           8
        .value_kind:     global_buffer
    .group_segment_fixed_size: 2048
    .kernarg_segment_align: 8
    .kernarg_segment_size: 16
    .language:       OpenCL C
    .language_version:
      - 2
      - 0
    .max_flat_workgroup_size: 512
    .name:           _Z20subtract_left_kernelIsss10custom_op1Lj512ELj8EEvPKT_PT1_
    .private_segment_fixed_size: 0
    .sgpr_count:     13
    .sgpr_spill_count: 0
    .symbol:         _Z20subtract_left_kernelIsss10custom_op1Lj512ELj8EEvPKT_PT1_.kd
    .uniform_work_group_size: 1
    .uses_dynamic_stack: false
    .vgpr_count:     13
    .vgpr_spill_count: 0
    .wavefront_size: 32
  - .args:
      - .address_space:  global
        .offset:         0
        .size:           8
        .value_kind:     global_buffer
      - .address_space:  global
        .offset:         8
        .size:           8
        .value_kind:     global_buffer
    .group_segment_fixed_size: 1024
    .kernarg_segment_align: 8
    .kernarg_segment_size: 16
    .language:       OpenCL C
    .language_version:
      - 2
      - 0
    .max_flat_workgroup_size: 256
    .name:           _Z20subtract_left_kernelIthhN6hipcub3SumELj256ELj7EEvPKT_PT1_
    .private_segment_fixed_size: 0
    .sgpr_count:     11
    .sgpr_spill_count: 0
    .symbol:         _Z20subtract_left_kernelIthhN6hipcub3SumELj256ELj7EEvPKT_PT1_.kd
    .uniform_work_group_size: 1
    .uses_dynamic_stack: false
    .vgpr_count:     14
    .vgpr_spill_count: 0
    .wavefront_size: 32
  - .args:
      - .address_space:  global
        .offset:         0
        .size:           8
        .value_kind:     global_buffer
      - .address_space:  global
        .offset:         8
        .size:           8
        .value_kind:     global_buffer
    .group_segment_fixed_size: 1024
    .kernarg_segment_align: 8
    .kernarg_segment_size: 16
    .language:       OpenCL C
    .language_version:
      - 2
      - 0
    .max_flat_workgroup_size: 128
    .name:           _Z20subtract_left_kernelIiss10custom_op2Lj128ELj4EEvPKT_PT1_
    .private_segment_fixed_size: 0
    .sgpr_count:     11
    .sgpr_spill_count: 0
    .symbol:         _Z20subtract_left_kernelIiss10custom_op2Lj128ELj4EEvPKT_PT1_.kd
    .uniform_work_group_size: 1
    .uses_dynamic_stack: false
    .vgpr_count:     12
    .vgpr_spill_count: 0
    .wavefront_size: 32
  - .args:
      - .address_space:  global
        .offset:         0
        .size:           8
        .value_kind:     global_buffer
      - .address_space:  global
        .offset:         8
        .size:           8
        .value_kind:     global_buffer
    .group_segment_fixed_size: 512
    .kernarg_segment_align: 8
    .kernarg_segment_size: 16
    .language:       OpenCL C
    .language_version:
      - 2
      - 0
    .max_flat_workgroup_size: 64
    .name:           _Z20subtract_left_kernelIicc10custom_op1Lj64ELj2EEvPKT_PT1_
    .private_segment_fixed_size: 0
    .sgpr_count:     11
    .sgpr_spill_count: 0
    .symbol:         _Z20subtract_left_kernelIicc10custom_op1Lj64ELj2EEvPKT_PT1_.kd
    .uniform_work_group_size: 1
    .uses_dynamic_stack: false
    .vgpr_count:     8
    .vgpr_spill_count: 0
    .wavefront_size: 32
  - .args:
      - .address_space:  global
        .offset:         0
        .size:           8
        .value_kind:     global_buffer
      - .address_space:  global
        .offset:         8
        .size:           8
        .value_kind:     global_buffer
    .group_segment_fixed_size: 510
    .kernarg_segment_align: 8
    .kernarg_segment_size: 16
    .language:       OpenCL C
    .language_version:
      - 2
      - 0
    .max_flat_workgroup_size: 255
    .name:           _Z20subtract_left_kernelIhbiN6hipcub3SumELj255ELj1EEvPKT_PT1_
    .private_segment_fixed_size: 0
    .sgpr_count:     11
    .sgpr_spill_count: 0
    .symbol:         _Z20subtract_left_kernelIhbiN6hipcub3SumELj255ELj1EEvPKT_PT1_.kd
    .uniform_work_group_size: 1
    .uses_dynamic_stack: false
    .vgpr_count:     3
    .vgpr_spill_count: 0
    .wavefront_size: 32
  - .args:
      - .address_space:  global
        .offset:         0
        .size:           8
        .value_kind:     global_buffer
      - .address_space:  global
        .offset:         8
        .size:           8
        .value_kind:     global_buffer
    .group_segment_fixed_size: 1296
    .kernarg_segment_align: 8
    .kernarg_segment_size: 16
    .language:       OpenCL C
    .language_version:
      - 2
      - 0
    .max_flat_workgroup_size: 162
    .name:           _Z20subtract_left_kernelIjxx10custom_op2Lj162ELj1EEvPKT_PT1_
    .private_segment_fixed_size: 0
    .sgpr_count:     11
    .sgpr_spill_count: 0
    .symbol:         _Z20subtract_left_kernelIjxx10custom_op2Lj162ELj1EEvPKT_PT1_.kd
    .uniform_work_group_size: 1
    .uses_dynamic_stack: false
    .vgpr_count:     4
    .vgpr_spill_count: 0
    .wavefront_size: 32
  - .args:
      - .address_space:  global
        .offset:         0
        .size:           8
        .value_kind:     global_buffer
      - .address_space:  global
        .offset:         8
        .size:           8
        .value_kind:     global_buffer
    .group_segment_fixed_size: 8160
    .kernarg_segment_align: 8
    .kernarg_segment_size: 16
    .language:       OpenCL C
    .language_version:
      - 2
      - 0
    .max_flat_workgroup_size: 510
    .name:           _Z20subtract_left_kernelIxcc10custom_op1Lj510ELj1EEvPKT_PT1_
    .private_segment_fixed_size: 0
    .sgpr_count:     11
    .sgpr_spill_count: 0
    .symbol:         _Z20subtract_left_kernelIxcc10custom_op1Lj510ELj1EEvPKT_PT1_.kd
    .uniform_work_group_size: 1
    .uses_dynamic_stack: false
    .vgpr_count:     7
    .vgpr_spill_count: 0
    .wavefront_size: 32
  - .args:
      - .address_space:  global
        .offset:         0
        .size:           8
        .value_kind:     global_buffer
      - .address_space:  global
        .offset:         8
        .size:           8
        .value_kind:     global_buffer
    .group_segment_fixed_size: 296
    .kernarg_segment_align: 8
    .kernarg_segment_size: 16
    .language:       OpenCL C
    .language_version:
      - 2
      - 0
    .max_flat_workgroup_size: 37
    .name:           _Z20subtract_left_kernelIfiiN6hipcub3SumELj37ELj1EEvPKT_PT1_
    .private_segment_fixed_size: 0
    .sgpr_count:     13
    .sgpr_spill_count: 0
    .symbol:         _Z20subtract_left_kernelIfiiN6hipcub3SumELj37ELj1EEvPKT_PT1_.kd
    .uniform_work_group_size: 1
    .uses_dynamic_stack: false
    .vgpr_count:     4
    .vgpr_spill_count: 0
    .wavefront_size: 32
  - .args:
      - .address_space:  global
        .offset:         0
        .size:           8
        .value_kind:     global_buffer
      - .address_space:  global
        .offset:         8
        .size:           8
        .value_kind:     global_buffer
    .group_segment_fixed_size: 2048
    .kernarg_segment_align: 8
    .kernarg_segment_size: 16
    .language:       OpenCL C
    .language_version:
      - 2
      - 0
    .max_flat_workgroup_size: 256
    .name:           _Z20subtract_left_kernelIibi10custom_op1Lj256ELj1EEvPKT_PT1_
    .private_segment_fixed_size: 0
    .sgpr_count:     13
    .sgpr_spill_count: 0
    .symbol:         _Z20subtract_left_kernelIibi10custom_op1Lj256ELj1EEvPKT_PT1_.kd
    .uniform_work_group_size: 1
    .uses_dynamic_stack: false
    .vgpr_count:     3
    .vgpr_spill_count: 0
    .wavefront_size: 32
  - .args:
      - .address_space:  global
        .offset:         0
        .size:           8
        .value_kind:     global_buffer
      - .address_space:  global
        .offset:         8
        .size:           8
        .value_kind:     global_buffer
    .group_segment_fixed_size: 1024
    .kernarg_segment_align: 8
    .kernarg_segment_size: 16
    .language:       OpenCL C
    .language_version:
      - 2
      - 0
    .max_flat_workgroup_size: 256
    .name:           _Z20subtract_left_kernelI12hip_bfloat16ii10custom_op2Lj256ELj1EEvPKT_PT1_
    .private_segment_fixed_size: 0
    .sgpr_count:     11
    .sgpr_spill_count: 0
    .symbol:         _Z20subtract_left_kernelI12hip_bfloat16ii10custom_op2Lj256ELj1EEvPKT_PT1_.kd
    .uniform_work_group_size: 1
    .uses_dynamic_stack: false
    .vgpr_count:     6
    .vgpr_spill_count: 0
    .wavefront_size: 32
  - .args:
      - .address_space:  global
        .offset:         0
        .size:           8
        .value_kind:     global_buffer
      - .address_space:  global
        .offset:         8
        .size:           8
        .value_kind:     global_buffer
    .group_segment_fixed_size: 1024
    .kernarg_segment_align: 8
    .kernarg_segment_size: 16
    .language:       OpenCL C
    .language_version:
      - 2
      - 0
    .max_flat_workgroup_size: 256
    .name:           _Z20subtract_left_kernelI6__halfii10custom_op1Lj256ELj1EEvPKT_PT1_
    .private_segment_fixed_size: 0
    .sgpr_count:     11
    .sgpr_spill_count: 0
    .symbol:         _Z20subtract_left_kernelI6__halfii10custom_op1Lj256ELj1EEvPKT_PT1_.kd
    .uniform_work_group_size: 1
    .uses_dynamic_stack: false
    .vgpr_count:     4
    .vgpr_spill_count: 0
    .wavefront_size: 32
  - .args:
      - .address_space:  global
        .offset:         0
        .size:           8
        .value_kind:     global_buffer
      - .address_space:  global
        .offset:         8
        .size:           8
        .value_kind:     global_buffer
    .group_segment_fixed_size: 2048
    .kernarg_segment_align: 8
    .kernarg_segment_size: 16
    .language:       OpenCL C
    .language_version:
      - 2
      - 0
    .max_flat_workgroup_size: 256
    .name:           _Z20subtract_left_kernelIfii10custom_op2Lj256ELj1EEvPKT_PT1_
    .private_segment_fixed_size: 0
    .sgpr_count:     13
    .sgpr_spill_count: 0
    .symbol:         _Z20subtract_left_kernelIfii10custom_op2Lj256ELj1EEvPKT_PT1_.kd
    .uniform_work_group_size: 1
    .uses_dynamic_stack: false
    .vgpr_count:     4
    .vgpr_spill_count: 0
    .wavefront_size: 32
  - .args:
      - .address_space:  global
        .offset:         0
        .size:           8
        .value_kind:     global_buffer
      - .address_space:  global
        .offset:         8
        .size:           8
        .value_kind:     global_buffer
    .group_segment_fixed_size: 1024
    .kernarg_segment_align: 8
    .kernarg_segment_size: 16
    .language:       OpenCL C
    .language_version:
      - 2
      - 0
    .max_flat_workgroup_size: 128
    .name:           _Z20subtract_left_kernelIibi10custom_op1Lj128ELj1EEvPKT_PT1_
    .private_segment_fixed_size: 0
    .sgpr_count:     13
    .sgpr_spill_count: 0
    .symbol:         _Z20subtract_left_kernelIibi10custom_op1Lj128ELj1EEvPKT_PT1_.kd
    .uniform_work_group_size: 1
    .uses_dynamic_stack: false
    .vgpr_count:     3
    .vgpr_spill_count: 0
    .wavefront_size: 32
  - .args:
      - .address_space:  global
        .offset:         0
        .size:           8
        .value_kind:     global_buffer
      - .address_space:  global
        .offset:         8
        .size:           8
        .value_kind:     global_buffer
    .group_segment_fixed_size: 512
    .kernarg_segment_align: 8
    .kernarg_segment_size: 16
    .language:       OpenCL C
    .language_version:
      - 2
      - 0
    .max_flat_workgroup_size: 64
    .name:           _Z20subtract_left_kernelIjiiN6hipcub3SumELj64ELj1EEvPKT_PT1_
    .private_segment_fixed_size: 0
    .sgpr_count:     13
    .sgpr_spill_count: 0
    .symbol:         _Z20subtract_left_kernelIjiiN6hipcub3SumELj64ELj1EEvPKT_PT1_.kd
    .uniform_work_group_size: 1
    .uses_dynamic_stack: false
    .vgpr_count:     4
    .vgpr_spill_count: 0
    .wavefront_size: 32
  - .args:
      - .address_space:  global
        .offset:         0
        .size:           8
        .value_kind:     global_buffer
      - .address_space:  global
        .offset:         8
        .size:           8
        .value_kind:     global_buffer
      - .address_space:  global
        .offset:         16
        .size:           8
        .value_kind:     global_buffer
    .group_segment_fixed_size: 936
    .kernarg_segment_align: 8
    .kernarg_segment_size: 24
    .language:       OpenCL C
    .language_version:
      - 2
      - 0
    .max_flat_workgroup_size: 234
    .name:           _Z33subtract_left_partial_tile_kernelIsbi10custom_op2Lj234ELj9EEvPKT_PiPT1_
    .private_segment_fixed_size: 0
    .sgpr_count:     15
    .sgpr_spill_count: 0
    .symbol:         _Z33subtract_left_partial_tile_kernelIsbi10custom_op2Lj234ELj9EEvPKT_PiPT1_.kd
    .uniform_work_group_size: 1
    .uses_dynamic_stack: false
    .vgpr_count:     26
    .vgpr_spill_count: 0
    .wavefront_size: 32
  - .args:
      - .address_space:  global
        .offset:         0
        .size:           8
        .value_kind:     global_buffer
      - .address_space:  global
        .offset:         8
        .size:           8
        .value_kind:     global_buffer
      - .address_space:  global
        .offset:         16
        .size:           8
        .value_kind:     global_buffer
    .group_segment_fixed_size: 400
    .kernarg_segment_align: 8
    .kernarg_segment_size: 24
    .language:       OpenCL C
    .language_version:
      - 2
      - 0
    .max_flat_workgroup_size: 100
    .name:           _Z33subtract_left_partial_tile_kernelItii10custom_op1Lj100ELj3EEvPKT_PiPT1_
    .private_segment_fixed_size: 0
    .sgpr_count:     15
    .sgpr_spill_count: 0
    .symbol:         _Z33subtract_left_partial_tile_kernelItii10custom_op1Lj100ELj3EEvPKT_PiPT1_.kd
    .uniform_work_group_size: 1
    .uses_dynamic_stack: false
    .vgpr_count:     12
    .vgpr_spill_count: 0
    .wavefront_size: 32
  - .args:
      - .address_space:  global
        .offset:         0
        .size:           8
        .value_kind:     global_buffer
      - .address_space:  global
        .offset:         8
        .size:           8
        .value_kind:     global_buffer
      - .address_space:  global
        .offset:         16
        .size:           8
        .value_kind:     global_buffer
    .group_segment_fixed_size: 7424
    .kernarg_segment_align: 8
    .kernarg_segment_size: 24
    .language:       OpenCL C
    .language_version:
      - 2
      - 0
    .max_flat_workgroup_size: 464
    .name:           _Z33subtract_left_partial_tile_kernelIdjjN6hipcub3SumELj464ELj2EEvPKT_PiPT1_
    .private_segment_fixed_size: 0
    .sgpr_count:     15
    .sgpr_spill_count: 0
    .symbol:         _Z33subtract_left_partial_tile_kernelIdjjN6hipcub3SumELj464ELj2EEvPKT_PiPT1_.kd
    .uniform_work_group_size: 1
    .uses_dynamic_stack: false
    .vgpr_count:     14
    .vgpr_spill_count: 0
    .wavefront_size: 32
  - .args:
      - .address_space:  global
        .offset:         0
        .size:           8
        .value_kind:     global_buffer
      - .address_space:  global
        .offset:         8
        .size:           8
        .value_kind:     global_buffer
      - .address_space:  global
        .offset:         16
        .size:           8
        .value_kind:     global_buffer
    .group_segment_fixed_size: 528
    .kernarg_segment_align: 8
    .kernarg_segment_size: 24
    .language:       OpenCL C
    .language_version:
      - 2
      - 0
    .max_flat_workgroup_size: 33
    .name:           _Z33subtract_left_partial_tile_kernelIdii10custom_op2Lj33ELj5EEvPKT_PiPT1_
    .private_segment_fixed_size: 0
    .sgpr_count:     15
    .sgpr_spill_count: 0
    .symbol:         _Z33subtract_left_partial_tile_kernelIdii10custom_op2Lj33ELj5EEvPKT_PiPT1_.kd
    .uniform_work_group_size: 1
    .uses_dynamic_stack: false
    .vgpr_count:     24
    .vgpr_spill_count: 0
    .wavefront_size: 32
  - .args:
      - .address_space:  global
        .offset:         0
        .size:           8
        .value_kind:     global_buffer
      - .address_space:  global
        .offset:         8
        .size:           8
        .value_kind:     global_buffer
      - .address_space:  global
        .offset:         16
        .size:           8
        .value_kind:     global_buffer
    .group_segment_fixed_size: 2048
    .kernarg_segment_align: 8
    .kernarg_segment_size: 24
    .language:       OpenCL C
    .language_version:
      - 2
      - 0
    .max_flat_workgroup_size: 512
    .name:           _Z33subtract_left_partial_tile_kernelIsss10custom_op1Lj512ELj8EEvPKT_PiPT1_
    .private_segment_fixed_size: 0
    .sgpr_count:     15
    .sgpr_spill_count: 0
    .symbol:         _Z33subtract_left_partial_tile_kernelIsss10custom_op1Lj512ELj8EEvPKT_PiPT1_.kd
    .uniform_work_group_size: 1
    .uses_dynamic_stack: false
    .vgpr_count:     23
    .vgpr_spill_count: 0
    .wavefront_size: 32
  - .args:
      - .address_space:  global
        .offset:         0
        .size:           8
        .value_kind:     global_buffer
      - .address_space:  global
        .offset:         8
        .size:           8
        .value_kind:     global_buffer
      - .address_space:  global
        .offset:         16
        .size:           8
        .value_kind:     global_buffer
    .group_segment_fixed_size: 1024
    .kernarg_segment_align: 8
    .kernarg_segment_size: 24
    .language:       OpenCL C
    .language_version:
      - 2
      - 0
    .max_flat_workgroup_size: 256
    .name:           _Z33subtract_left_partial_tile_kernelIthhN6hipcub3SumELj256ELj7EEvPKT_PiPT1_
    .private_segment_fixed_size: 0
    .sgpr_count:     15
    .sgpr_spill_count: 0
    .symbol:         _Z33subtract_left_partial_tile_kernelIthhN6hipcub3SumELj256ELj7EEvPKT_PiPT1_.kd
    .uniform_work_group_size: 1
    .uses_dynamic_stack: false
    .vgpr_count:     21
    .vgpr_spill_count: 0
    .wavefront_size: 32
  - .args:
      - .address_space:  global
        .offset:         0
        .size:           8
        .value_kind:     global_buffer
      - .address_space:  global
        .offset:         8
        .size:           8
        .value_kind:     global_buffer
      - .address_space:  global
        .offset:         16
        .size:           8
        .value_kind:     global_buffer
    .group_segment_fixed_size: 1024
    .kernarg_segment_align: 8
    .kernarg_segment_size: 24
    .language:       OpenCL C
    .language_version:
      - 2
      - 0
    .max_flat_workgroup_size: 128
    .name:           _Z33subtract_left_partial_tile_kernelIiss10custom_op2Lj128ELj4EEvPKT_PiPT1_
    .private_segment_fixed_size: 0
    .sgpr_count:     15
    .sgpr_spill_count: 0
    .symbol:         _Z33subtract_left_partial_tile_kernelIiss10custom_op2Lj128ELj4EEvPKT_PiPT1_.kd
    .uniform_work_group_size: 1
    .uses_dynamic_stack: false
    .vgpr_count:     15
    .vgpr_spill_count: 0
    .wavefront_size: 32
  - .args:
      - .address_space:  global
        .offset:         0
        .size:           8
        .value_kind:     global_buffer
      - .address_space:  global
        .offset:         8
        .size:           8
        .value_kind:     global_buffer
      - .address_space:  global
        .offset:         16
        .size:           8
        .value_kind:     global_buffer
    .group_segment_fixed_size: 512
    .kernarg_segment_align: 8
    .kernarg_segment_size: 24
    .language:       OpenCL C
    .language_version:
      - 2
      - 0
    .max_flat_workgroup_size: 64
    .name:           _Z33subtract_left_partial_tile_kernelIicc10custom_op1Lj64ELj2EEvPKT_PiPT1_
    .private_segment_fixed_size: 0
    .sgpr_count:     15
    .sgpr_spill_count: 0
    .symbol:         _Z33subtract_left_partial_tile_kernelIicc10custom_op1Lj64ELj2EEvPKT_PiPT1_.kd
    .uniform_work_group_size: 1
    .uses_dynamic_stack: false
    .vgpr_count:     10
    .vgpr_spill_count: 0
    .wavefront_size: 32
  - .args:
      - .address_space:  global
        .offset:         0
        .size:           8
        .value_kind:     global_buffer
      - .address_space:  global
        .offset:         8
        .size:           8
        .value_kind:     global_buffer
      - .address_space:  global
        .offset:         16
        .size:           8
        .value_kind:     global_buffer
    .group_segment_fixed_size: 510
    .kernarg_segment_align: 8
    .kernarg_segment_size: 24
    .language:       OpenCL C
    .language_version:
      - 2
      - 0
    .max_flat_workgroup_size: 255
    .name:           _Z33subtract_left_partial_tile_kernelIhbiN6hipcub3SumELj255ELj1EEvPKT_PiPT1_
    .private_segment_fixed_size: 0
    .sgpr_count:     13
    .sgpr_spill_count: 0
    .symbol:         _Z33subtract_left_partial_tile_kernelIhbiN6hipcub3SumELj255ELj1EEvPKT_PiPT1_.kd
    .uniform_work_group_size: 1
    .uses_dynamic_stack: false
    .vgpr_count:     3
    .vgpr_spill_count: 0
    .wavefront_size: 32
  - .args:
      - .address_space:  global
        .offset:         0
        .size:           8
        .value_kind:     global_buffer
      - .address_space:  global
        .offset:         8
        .size:           8
        .value_kind:     global_buffer
      - .address_space:  global
        .offset:         16
        .size:           8
        .value_kind:     global_buffer
    .group_segment_fixed_size: 1296
    .kernarg_segment_align: 8
    .kernarg_segment_size: 24
    .language:       OpenCL C
    .language_version:
      - 2
      - 0
    .max_flat_workgroup_size: 162
    .name:           _Z33subtract_left_partial_tile_kernelIjxx10custom_op2Lj162ELj1EEvPKT_PiPT1_
    .private_segment_fixed_size: 0
    .sgpr_count:     15
    .sgpr_spill_count: 0
    .symbol:         _Z33subtract_left_partial_tile_kernelIjxx10custom_op2Lj162ELj1EEvPKT_PiPT1_.kd
    .uniform_work_group_size: 1
    .uses_dynamic_stack: false
    .vgpr_count:     4
    .vgpr_spill_count: 0
    .wavefront_size: 32
  - .args:
      - .address_space:  global
        .offset:         0
        .size:           8
        .value_kind:     global_buffer
      - .address_space:  global
        .offset:         8
        .size:           8
        .value_kind:     global_buffer
      - .address_space:  global
        .offset:         16
        .size:           8
        .value_kind:     global_buffer
    .group_segment_fixed_size: 8160
    .kernarg_segment_align: 8
    .kernarg_segment_size: 24
    .language:       OpenCL C
    .language_version:
      - 2
      - 0
    .max_flat_workgroup_size: 510
    .name:           _Z33subtract_left_partial_tile_kernelIxcc10custom_op1Lj510ELj1EEvPKT_PiPT1_
    .private_segment_fixed_size: 0
    .sgpr_count:     15
    .sgpr_spill_count: 0
    .symbol:         _Z33subtract_left_partial_tile_kernelIxcc10custom_op1Lj510ELj1EEvPKT_PiPT1_.kd
    .uniform_work_group_size: 1
    .uses_dynamic_stack: false
    .vgpr_count:     7
    .vgpr_spill_count: 0
    .wavefront_size: 32
  - .args:
      - .address_space:  global
        .offset:         0
        .size:           8
        .value_kind:     global_buffer
      - .address_space:  global
        .offset:         8
        .size:           8
        .value_kind:     global_buffer
      - .address_space:  global
        .offset:         16
        .size:           8
        .value_kind:     global_buffer
    .group_segment_fixed_size: 296
    .kernarg_segment_align: 8
    .kernarg_segment_size: 24
    .language:       OpenCL C
    .language_version:
      - 2
      - 0
    .max_flat_workgroup_size: 37
    .name:           _Z33subtract_left_partial_tile_kernelIfiiN6hipcub3SumELj37ELj1EEvPKT_PiPT1_
    .private_segment_fixed_size: 0
    .sgpr_count:     15
    .sgpr_spill_count: 0
    .symbol:         _Z33subtract_left_partial_tile_kernelIfiiN6hipcub3SumELj37ELj1EEvPKT_PiPT1_.kd
    .uniform_work_group_size: 1
    .uses_dynamic_stack: false
    .vgpr_count:     4
    .vgpr_spill_count: 0
    .wavefront_size: 32
  - .args:
      - .address_space:  global
        .offset:         0
        .size:           8
        .value_kind:     global_buffer
      - .address_space:  global
        .offset:         8
        .size:           8
        .value_kind:     global_buffer
      - .address_space:  global
        .offset:         16
        .size:           8
        .value_kind:     global_buffer
    .group_segment_fixed_size: 2048
    .kernarg_segment_align: 8
    .kernarg_segment_size: 24
    .language:       OpenCL C
    .language_version:
      - 2
      - 0
    .max_flat_workgroup_size: 256
    .name:           _Z33subtract_left_partial_tile_kernelIibi10custom_op1Lj256ELj1EEvPKT_PiPT1_
    .private_segment_fixed_size: 0
    .sgpr_count:     15
    .sgpr_spill_count: 0
    .symbol:         _Z33subtract_left_partial_tile_kernelIibi10custom_op1Lj256ELj1EEvPKT_PiPT1_.kd
    .uniform_work_group_size: 1
    .uses_dynamic_stack: false
    .vgpr_count:     4
    .vgpr_spill_count: 0
    .wavefront_size: 32
  - .args:
      - .address_space:  global
        .offset:         0
        .size:           8
        .value_kind:     global_buffer
      - .address_space:  global
        .offset:         8
        .size:           8
        .value_kind:     global_buffer
      - .address_space:  global
        .offset:         16
        .size:           8
        .value_kind:     global_buffer
    .group_segment_fixed_size: 1024
    .kernarg_segment_align: 8
    .kernarg_segment_size: 24
    .language:       OpenCL C
    .language_version:
      - 2
      - 0
    .max_flat_workgroup_size: 256
    .name:           _Z33subtract_left_partial_tile_kernelI12hip_bfloat16ii10custom_op2Lj256ELj1EEvPKT_PiPT1_
    .private_segment_fixed_size: 0
    .sgpr_count:     15
    .sgpr_spill_count: 0
    .symbol:         _Z33subtract_left_partial_tile_kernelI12hip_bfloat16ii10custom_op2Lj256ELj1EEvPKT_PiPT1_.kd
    .uniform_work_group_size: 1
    .uses_dynamic_stack: false
    .vgpr_count:     7
    .vgpr_spill_count: 0
    .wavefront_size: 32
  - .args:
      - .address_space:  global
        .offset:         0
        .size:           8
        .value_kind:     global_buffer
      - .address_space:  global
        .offset:         8
        .size:           8
        .value_kind:     global_buffer
      - .address_space:  global
        .offset:         16
        .size:           8
        .value_kind:     global_buffer
    .group_segment_fixed_size: 1024
    .kernarg_segment_align: 8
    .kernarg_segment_size: 24
    .language:       OpenCL C
    .language_version:
      - 2
      - 0
    .max_flat_workgroup_size: 256
    .name:           _Z33subtract_left_partial_tile_kernelI6__halfii10custom_op1Lj256ELj1EEvPKT_PiPT1_
    .private_segment_fixed_size: 0
    .sgpr_count:     15
    .sgpr_spill_count: 0
    .symbol:         _Z33subtract_left_partial_tile_kernelI6__halfii10custom_op1Lj256ELj1EEvPKT_PiPT1_.kd
    .uniform_work_group_size: 1
    .uses_dynamic_stack: false
    .vgpr_count:     4
    .vgpr_spill_count: 0
    .wavefront_size: 32
  - .args:
      - .address_space:  global
        .offset:         0
        .size:           8
        .value_kind:     global_buffer
      - .address_space:  global
        .offset:         8
        .size:           8
        .value_kind:     global_buffer
      - .address_space:  global
        .offset:         16
        .size:           8
        .value_kind:     global_buffer
    .group_segment_fixed_size: 2048
    .kernarg_segment_align: 8
    .kernarg_segment_size: 24
    .language:       OpenCL C
    .language_version:
      - 2
      - 0
    .max_flat_workgroup_size: 256
    .name:           _Z33subtract_left_partial_tile_kernelIfii10custom_op2Lj256ELj1EEvPKT_PiPT1_
    .private_segment_fixed_size: 0
    .sgpr_count:     15
    .sgpr_spill_count: 0
    .symbol:         _Z33subtract_left_partial_tile_kernelIfii10custom_op2Lj256ELj1EEvPKT_PiPT1_.kd
    .uniform_work_group_size: 1
    .uses_dynamic_stack: false
    .vgpr_count:     4
    .vgpr_spill_count: 0
    .wavefront_size: 32
  - .args:
      - .address_space:  global
        .offset:         0
        .size:           8
        .value_kind:     global_buffer
      - .address_space:  global
        .offset:         8
        .size:           8
        .value_kind:     global_buffer
      - .address_space:  global
        .offset:         16
        .size:           8
        .value_kind:     global_buffer
    .group_segment_fixed_size: 1024
    .kernarg_segment_align: 8
    .kernarg_segment_size: 24
    .language:       OpenCL C
    .language_version:
      - 2
      - 0
    .max_flat_workgroup_size: 128
    .name:           _Z33subtract_left_partial_tile_kernelIibi10custom_op1Lj128ELj1EEvPKT_PiPT1_
    .private_segment_fixed_size: 0
    .sgpr_count:     15
    .sgpr_spill_count: 0
    .symbol:         _Z33subtract_left_partial_tile_kernelIibi10custom_op1Lj128ELj1EEvPKT_PiPT1_.kd
    .uniform_work_group_size: 1
    .uses_dynamic_stack: false
    .vgpr_count:     4
    .vgpr_spill_count: 0
    .wavefront_size: 32
  - .args:
      - .address_space:  global
        .offset:         0
        .size:           8
        .value_kind:     global_buffer
      - .address_space:  global
        .offset:         8
        .size:           8
        .value_kind:     global_buffer
      - .address_space:  global
        .offset:         16
        .size:           8
        .value_kind:     global_buffer
    .group_segment_fixed_size: 512
    .kernarg_segment_align: 8
    .kernarg_segment_size: 24
    .language:       OpenCL C
    .language_version:
      - 2
      - 0
    .max_flat_workgroup_size: 64
    .name:           _Z33subtract_left_partial_tile_kernelIjiiN6hipcub3SumELj64ELj1EEvPKT_PiPT1_
    .private_segment_fixed_size: 0
    .sgpr_count:     15
    .sgpr_spill_count: 0
    .symbol:         _Z33subtract_left_partial_tile_kernelIjiiN6hipcub3SumELj64ELj1EEvPKT_PiPT1_.kd
    .uniform_work_group_size: 1
    .uses_dynamic_stack: false
    .vgpr_count:     4
    .vgpr_spill_count: 0
    .wavefront_size: 32
  - .args:
      - .address_space:  global
        .offset:         0
        .size:           8
        .value_kind:     global_buffer
      - .address_space:  global
        .offset:         8
        .size:           8
        .value_kind:     global_buffer
    .group_segment_fixed_size: 936
    .kernarg_segment_align: 8
    .kernarg_segment_size: 16
    .language:       OpenCL C
    .language_version:
      - 2
      - 0
    .max_flat_workgroup_size: 234
    .name:           _Z21subtract_right_kernelIsbi10custom_op2Lj234ELj9EEvPKT_PT1_
    .private_segment_fixed_size: 0
    .sgpr_count:     11
    .sgpr_spill_count: 0
    .symbol:         _Z21subtract_right_kernelIsbi10custom_op2Lj234ELj9EEvPKT_PT1_.kd
    .uniform_work_group_size: 1
    .uses_dynamic_stack: false
    .vgpr_count:     22
    .vgpr_spill_count: 0
    .wavefront_size: 32
  - .args:
      - .address_space:  global
        .offset:         0
        .size:           8
        .value_kind:     global_buffer
      - .address_space:  global
        .offset:         8
        .size:           8
        .value_kind:     global_buffer
    .group_segment_fixed_size: 400
    .kernarg_segment_align: 8
    .kernarg_segment_size: 16
    .language:       OpenCL C
    .language_version:
      - 2
      - 0
    .max_flat_workgroup_size: 100
    .name:           _Z21subtract_right_kernelItii10custom_op1Lj100ELj3EEvPKT_PT1_
    .private_segment_fixed_size: 0
    .sgpr_count:     11
    .sgpr_spill_count: 0
    .symbol:         _Z21subtract_right_kernelItii10custom_op1Lj100ELj3EEvPKT_PT1_.kd
    .uniform_work_group_size: 1
    .uses_dynamic_stack: false
    .vgpr_count:     9
    .vgpr_spill_count: 0
    .wavefront_size: 32
  - .args:
      - .address_space:  global
        .offset:         0
        .size:           8
        .value_kind:     global_buffer
      - .address_space:  global
        .offset:         8
        .size:           8
        .value_kind:     global_buffer
    .group_segment_fixed_size: 7424
    .kernarg_segment_align: 8
    .kernarg_segment_size: 16
    .language:       OpenCL C
    .language_version:
      - 2
      - 0
    .max_flat_workgroup_size: 464
    .name:           _Z21subtract_right_kernelIdjjN6hipcub3SumELj464ELj2EEvPKT_PT1_
    .private_segment_fixed_size: 0
    .sgpr_count:     11
    .sgpr_spill_count: 0
    .symbol:         _Z21subtract_right_kernelIdjjN6hipcub3SumELj464ELj2EEvPKT_PT1_.kd
    .uniform_work_group_size: 1
    .uses_dynamic_stack: false
    .vgpr_count:     12
    .vgpr_spill_count: 0
    .wavefront_size: 32
  - .args:
      - .address_space:  global
        .offset:         0
        .size:           8
        .value_kind:     global_buffer
      - .address_space:  global
        .offset:         8
        .size:           8
        .value_kind:     global_buffer
    .group_segment_fixed_size: 528
    .kernarg_segment_align: 8
    .kernarg_segment_size: 16
    .language:       OpenCL C
    .language_version:
      - 2
      - 0
    .max_flat_workgroup_size: 33
    .name:           _Z21subtract_right_kernelIdii10custom_op2Lj33ELj5EEvPKT_PT1_
    .private_segment_fixed_size: 0
    .sgpr_count:     11
    .sgpr_spill_count: 0
    .symbol:         _Z21subtract_right_kernelIdii10custom_op2Lj33ELj5EEvPKT_PT1_.kd
    .uniform_work_group_size: 1
    .uses_dynamic_stack: false
    .vgpr_count:     26
    .vgpr_spill_count: 0
    .wavefront_size: 32
  - .args:
      - .address_space:  global
        .offset:         0
        .size:           8
        .value_kind:     global_buffer
      - .address_space:  global
        .offset:         8
        .size:           8
        .value_kind:     global_buffer
    .group_segment_fixed_size: 2048
    .kernarg_segment_align: 8
    .kernarg_segment_size: 16
    .language:       OpenCL C
    .language_version:
      - 2
      - 0
    .max_flat_workgroup_size: 512
    .name:           _Z21subtract_right_kernelIsss10custom_op1Lj512ELj8EEvPKT_PT1_
    .private_segment_fixed_size: 0
    .sgpr_count:     11
    .sgpr_spill_count: 0
    .symbol:         _Z21subtract_right_kernelIsss10custom_op1Lj512ELj8EEvPKT_PT1_.kd
    .uniform_work_group_size: 1
    .uses_dynamic_stack: false
    .vgpr_count:     15
    .vgpr_spill_count: 0
    .wavefront_size: 32
  - .args:
      - .address_space:  global
        .offset:         0
        .size:           8
        .value_kind:     global_buffer
      - .address_space:  global
        .offset:         8
        .size:           8
        .value_kind:     global_buffer
    .group_segment_fixed_size: 1024
    .kernarg_segment_align: 8
    .kernarg_segment_size: 16
    .language:       OpenCL C
    .language_version:
      - 2
      - 0
    .max_flat_workgroup_size: 256
    .name:           _Z21subtract_right_kernelIthhN6hipcub3SumELj256ELj7EEvPKT_PT1_
    .private_segment_fixed_size: 0
    .sgpr_count:     11
    .sgpr_spill_count: 0
    .symbol:         _Z21subtract_right_kernelIthhN6hipcub3SumELj256ELj7EEvPKT_PT1_.kd
    .uniform_work_group_size: 1
    .uses_dynamic_stack: false
    .vgpr_count:     17
    .vgpr_spill_count: 0
    .wavefront_size: 32
  - .args:
      - .address_space:  global
        .offset:         0
        .size:           8
        .value_kind:     global_buffer
      - .address_space:  global
        .offset:         8
        .size:           8
        .value_kind:     global_buffer
    .group_segment_fixed_size: 1024
    .kernarg_segment_align: 8
    .kernarg_segment_size: 16
    .language:       OpenCL C
    .language_version:
      - 2
      - 0
    .max_flat_workgroup_size: 128
    .name:           _Z21subtract_right_kernelIiss10custom_op2Lj128ELj4EEvPKT_PT1_
    .private_segment_fixed_size: 0
    .sgpr_count:     11
    .sgpr_spill_count: 0
    .symbol:         _Z21subtract_right_kernelIiss10custom_op2Lj128ELj4EEvPKT_PT1_.kd
    .uniform_work_group_size: 1
    .uses_dynamic_stack: false
    .vgpr_count:     12
    .vgpr_spill_count: 0
    .wavefront_size: 32
  - .args:
      - .address_space:  global
        .offset:         0
        .size:           8
        .value_kind:     global_buffer
      - .address_space:  global
        .offset:         8
        .size:           8
        .value_kind:     global_buffer
    .group_segment_fixed_size: 512
    .kernarg_segment_align: 8
    .kernarg_segment_size: 16
    .language:       OpenCL C
    .language_version:
      - 2
      - 0
    .max_flat_workgroup_size: 64
    .name:           _Z21subtract_right_kernelIicc10custom_op1Lj64ELj2EEvPKT_PT1_
    .private_segment_fixed_size: 0
    .sgpr_count:     11
    .sgpr_spill_count: 0
    .symbol:         _Z21subtract_right_kernelIicc10custom_op1Lj64ELj2EEvPKT_PT1_.kd
    .uniform_work_group_size: 1
    .uses_dynamic_stack: false
    .vgpr_count:     8
    .vgpr_spill_count: 0
    .wavefront_size: 32
  - .args:
      - .address_space:  global
        .offset:         0
        .size:           8
        .value_kind:     global_buffer
      - .address_space:  global
        .offset:         8
        .size:           8
        .value_kind:     global_buffer
    .group_segment_fixed_size: 510
    .kernarg_segment_align: 8
    .kernarg_segment_size: 16
    .language:       OpenCL C
    .language_version:
      - 2
      - 0
    .max_flat_workgroup_size: 255
    .name:           _Z21subtract_right_kernelIhbiN6hipcub3SumELj255ELj1EEvPKT_PT1_
    .private_segment_fixed_size: 0
    .sgpr_count:     11
    .sgpr_spill_count: 0
    .symbol:         _Z21subtract_right_kernelIhbiN6hipcub3SumELj255ELj1EEvPKT_PT1_.kd
    .uniform_work_group_size: 1
    .uses_dynamic_stack: false
    .vgpr_count:     3
    .vgpr_spill_count: 0
    .wavefront_size: 32
  - .args:
      - .address_space:  global
        .offset:         0
        .size:           8
        .value_kind:     global_buffer
      - .address_space:  global
        .offset:         8
        .size:           8
        .value_kind:     global_buffer
    .group_segment_fixed_size: 1296
    .kernarg_segment_align: 8
    .kernarg_segment_size: 16
    .language:       OpenCL C
    .language_version:
      - 2
      - 0
    .max_flat_workgroup_size: 162
    .name:           _Z21subtract_right_kernelIjxx10custom_op2Lj162ELj1EEvPKT_PT1_
    .private_segment_fixed_size: 0
    .sgpr_count:     11
    .sgpr_spill_count: 0
    .symbol:         _Z21subtract_right_kernelIjxx10custom_op2Lj162ELj1EEvPKT_PT1_.kd
    .uniform_work_group_size: 1
    .uses_dynamic_stack: false
    .vgpr_count:     4
    .vgpr_spill_count: 0
    .wavefront_size: 32
  - .args:
      - .address_space:  global
        .offset:         0
        .size:           8
        .value_kind:     global_buffer
      - .address_space:  global
        .offset:         8
        .size:           8
        .value_kind:     global_buffer
    .group_segment_fixed_size: 8160
    .kernarg_segment_align: 8
    .kernarg_segment_size: 16
    .language:       OpenCL C
    .language_version:
      - 2
      - 0
    .max_flat_workgroup_size: 510
    .name:           _Z21subtract_right_kernelIxcc10custom_op1Lj510ELj1EEvPKT_PT1_
    .private_segment_fixed_size: 0
    .sgpr_count:     11
    .sgpr_spill_count: 0
    .symbol:         _Z21subtract_right_kernelIxcc10custom_op1Lj510ELj1EEvPKT_PT1_.kd
    .uniform_work_group_size: 1
    .uses_dynamic_stack: false
    .vgpr_count:     7
    .vgpr_spill_count: 0
    .wavefront_size: 32
  - .args:
      - .address_space:  global
        .offset:         0
        .size:           8
        .value_kind:     global_buffer
      - .address_space:  global
        .offset:         8
        .size:           8
        .value_kind:     global_buffer
    .group_segment_fixed_size: 296
    .kernarg_segment_align: 8
    .kernarg_segment_size: 16
    .language:       OpenCL C
    .language_version:
      - 2
      - 0
    .max_flat_workgroup_size: 37
    .name:           _Z21subtract_right_kernelIfiiN6hipcub3SumELj37ELj1EEvPKT_PT1_
    .private_segment_fixed_size: 0
    .sgpr_count:     13
    .sgpr_spill_count: 0
    .symbol:         _Z21subtract_right_kernelIfiiN6hipcub3SumELj37ELj1EEvPKT_PT1_.kd
    .uniform_work_group_size: 1
    .uses_dynamic_stack: false
    .vgpr_count:     4
    .vgpr_spill_count: 0
    .wavefront_size: 32
  - .args:
      - .address_space:  global
        .offset:         0
        .size:           8
        .value_kind:     global_buffer
      - .address_space:  global
        .offset:         8
        .size:           8
        .value_kind:     global_buffer
    .group_segment_fixed_size: 2048
    .kernarg_segment_align: 8
    .kernarg_segment_size: 16
    .language:       OpenCL C
    .language_version:
      - 2
      - 0
    .max_flat_workgroup_size: 256
    .name:           _Z21subtract_right_kernelIibi10custom_op1Lj256ELj1EEvPKT_PT1_
    .private_segment_fixed_size: 0
    .sgpr_count:     13
    .sgpr_spill_count: 0
    .symbol:         _Z21subtract_right_kernelIibi10custom_op1Lj256ELj1EEvPKT_PT1_.kd
    .uniform_work_group_size: 1
    .uses_dynamic_stack: false
    .vgpr_count:     4
    .vgpr_spill_count: 0
    .wavefront_size: 32
  - .args:
      - .address_space:  global
        .offset:         0
        .size:           8
        .value_kind:     global_buffer
      - .address_space:  global
        .offset:         8
        .size:           8
        .value_kind:     global_buffer
    .group_segment_fixed_size: 1024
    .kernarg_segment_align: 8
    .kernarg_segment_size: 16
    .language:       OpenCL C
    .language_version:
      - 2
      - 0
    .max_flat_workgroup_size: 256
    .name:           _Z21subtract_right_kernelI12hip_bfloat16ii10custom_op2Lj256ELj1EEvPKT_PT1_
    .private_segment_fixed_size: 0
    .sgpr_count:     11
    .sgpr_spill_count: 0
    .symbol:         _Z21subtract_right_kernelI12hip_bfloat16ii10custom_op2Lj256ELj1EEvPKT_PT1_.kd
    .uniform_work_group_size: 1
    .uses_dynamic_stack: false
    .vgpr_count:     7
    .vgpr_spill_count: 0
    .wavefront_size: 32
  - .args:
      - .address_space:  global
        .offset:         0
        .size:           8
        .value_kind:     global_buffer
      - .address_space:  global
        .offset:         8
        .size:           8
        .value_kind:     global_buffer
    .group_segment_fixed_size: 1024
    .kernarg_segment_align: 8
    .kernarg_segment_size: 16
    .language:       OpenCL C
    .language_version:
      - 2
      - 0
    .max_flat_workgroup_size: 256
    .name:           _Z21subtract_right_kernelI6__halfii10custom_op1Lj256ELj1EEvPKT_PT1_
    .private_segment_fixed_size: 0
    .sgpr_count:     11
    .sgpr_spill_count: 0
    .symbol:         _Z21subtract_right_kernelI6__halfii10custom_op1Lj256ELj1EEvPKT_PT1_.kd
    .uniform_work_group_size: 1
    .uses_dynamic_stack: false
    .vgpr_count:     4
    .vgpr_spill_count: 0
    .wavefront_size: 32
  - .args:
      - .address_space:  global
        .offset:         0
        .size:           8
        .value_kind:     global_buffer
      - .address_space:  global
        .offset:         8
        .size:           8
        .value_kind:     global_buffer
    .group_segment_fixed_size: 2048
    .kernarg_segment_align: 8
    .kernarg_segment_size: 16
    .language:       OpenCL C
    .language_version:
      - 2
      - 0
    .max_flat_workgroup_size: 256
    .name:           _Z21subtract_right_kernelIfii10custom_op2Lj256ELj1EEvPKT_PT1_
    .private_segment_fixed_size: 0
    .sgpr_count:     11
    .sgpr_spill_count: 0
    .symbol:         _Z21subtract_right_kernelIfii10custom_op2Lj256ELj1EEvPKT_PT1_.kd
    .uniform_work_group_size: 1
    .uses_dynamic_stack: false
    .vgpr_count:     4
    .vgpr_spill_count: 0
    .wavefront_size: 32
  - .args:
      - .address_space:  global
        .offset:         0
        .size:           8
        .value_kind:     global_buffer
      - .address_space:  global
        .offset:         8
        .size:           8
        .value_kind:     global_buffer
    .group_segment_fixed_size: 1024
    .kernarg_segment_align: 8
    .kernarg_segment_size: 16
    .language:       OpenCL C
    .language_version:
      - 2
      - 0
    .max_flat_workgroup_size: 128
    .name:           _Z21subtract_right_kernelIibi10custom_op1Lj128ELj1EEvPKT_PT1_
    .private_segment_fixed_size: 0
    .sgpr_count:     13
    .sgpr_spill_count: 0
    .symbol:         _Z21subtract_right_kernelIibi10custom_op1Lj128ELj1EEvPKT_PT1_.kd
    .uniform_work_group_size: 1
    .uses_dynamic_stack: false
    .vgpr_count:     4
    .vgpr_spill_count: 0
    .wavefront_size: 32
  - .args:
      - .address_space:  global
        .offset:         0
        .size:           8
        .value_kind:     global_buffer
      - .address_space:  global
        .offset:         8
        .size:           8
        .value_kind:     global_buffer
    .group_segment_fixed_size: 512
    .kernarg_segment_align: 8
    .kernarg_segment_size: 16
    .language:       OpenCL C
    .language_version:
      - 2
      - 0
    .max_flat_workgroup_size: 64
    .name:           _Z21subtract_right_kernelIjiiN6hipcub3SumELj64ELj1EEvPKT_PT1_
    .private_segment_fixed_size: 0
    .sgpr_count:     11
    .sgpr_spill_count: 0
    .symbol:         _Z21subtract_right_kernelIjiiN6hipcub3SumELj64ELj1EEvPKT_PT1_.kd
    .uniform_work_group_size: 1
    .uses_dynamic_stack: false
    .vgpr_count:     4
    .vgpr_spill_count: 0
    .wavefront_size: 32
  - .args:
      - .address_space:  global
        .offset:         0
        .size:           8
        .value_kind:     global_buffer
      - .address_space:  global
        .offset:         8
        .size:           8
        .value_kind:     global_buffer
      - .address_space:  global
        .offset:         16
        .size:           8
        .value_kind:     global_buffer
    .group_segment_fixed_size: 936
    .kernarg_segment_align: 8
    .kernarg_segment_size: 24
    .language:       OpenCL C
    .language_version:
      - 2
      - 0
    .max_flat_workgroup_size: 234
    .name:           _Z34subtract_right_partial_tile_kernelIsbi10custom_op2Lj234ELj9EEvPKT_PiPT1_
    .private_segment_fixed_size: 0
    .sgpr_count:     13
    .sgpr_spill_count: 0
    .symbol:         _Z34subtract_right_partial_tile_kernelIsbi10custom_op2Lj234ELj9EEvPKT_PiPT1_.kd
    .uniform_work_group_size: 1
    .uses_dynamic_stack: false
    .vgpr_count:     31
    .vgpr_spill_count: 0
    .wavefront_size: 32
  - .args:
      - .address_space:  global
        .offset:         0
        .size:           8
        .value_kind:     global_buffer
      - .address_space:  global
        .offset:         8
        .size:           8
        .value_kind:     global_buffer
      - .address_space:  global
        .offset:         16
        .size:           8
        .value_kind:     global_buffer
    .group_segment_fixed_size: 400
    .kernarg_segment_align: 8
    .kernarg_segment_size: 24
    .language:       OpenCL C
    .language_version:
      - 2
      - 0
    .max_flat_workgroup_size: 100
    .name:           _Z34subtract_right_partial_tile_kernelItii10custom_op1Lj100ELj3EEvPKT_PiPT1_
    .private_segment_fixed_size: 0
    .sgpr_count:     13
    .sgpr_spill_count: 0
    .symbol:         _Z34subtract_right_partial_tile_kernelItii10custom_op1Lj100ELj3EEvPKT_PiPT1_.kd
    .uniform_work_group_size: 1
    .uses_dynamic_stack: false
    .vgpr_count:     11
    .vgpr_spill_count: 0
    .wavefront_size: 32
  - .args:
      - .address_space:  global
        .offset:         0
        .size:           8
        .value_kind:     global_buffer
      - .address_space:  global
        .offset:         8
        .size:           8
        .value_kind:     global_buffer
      - .address_space:  global
        .offset:         16
        .size:           8
        .value_kind:     global_buffer
    .group_segment_fixed_size: 7424
    .kernarg_segment_align: 8
    .kernarg_segment_size: 24
    .language:       OpenCL C
    .language_version:
      - 2
      - 0
    .max_flat_workgroup_size: 464
    .name:           _Z34subtract_right_partial_tile_kernelIdjjN6hipcub3SumELj464ELj2EEvPKT_PiPT1_
    .private_segment_fixed_size: 0
    .sgpr_count:     13
    .sgpr_spill_count: 0
    .symbol:         _Z34subtract_right_partial_tile_kernelIdjjN6hipcub3SumELj464ELj2EEvPKT_PiPT1_.kd
    .uniform_work_group_size: 1
    .uses_dynamic_stack: false
    .vgpr_count:     10
    .vgpr_spill_count: 0
    .wavefront_size: 32
  - .args:
      - .address_space:  global
        .offset:         0
        .size:           8
        .value_kind:     global_buffer
      - .address_space:  global
        .offset:         8
        .size:           8
        .value_kind:     global_buffer
      - .address_space:  global
        .offset:         16
        .size:           8
        .value_kind:     global_buffer
    .group_segment_fixed_size: 528
    .kernarg_segment_align: 8
    .kernarg_segment_size: 24
    .language:       OpenCL C
    .language_version:
      - 2
      - 0
    .max_flat_workgroup_size: 33
    .name:           _Z34subtract_right_partial_tile_kernelIdii10custom_op2Lj33ELj5EEvPKT_PiPT1_
    .private_segment_fixed_size: 0
    .sgpr_count:     13
    .sgpr_spill_count: 0
    .symbol:         _Z34subtract_right_partial_tile_kernelIdii10custom_op2Lj33ELj5EEvPKT_PiPT1_.kd
    .uniform_work_group_size: 1
    .uses_dynamic_stack: false
    .vgpr_count:     16
    .vgpr_spill_count: 0
    .wavefront_size: 32
  - .args:
      - .address_space:  global
        .offset:         0
        .size:           8
        .value_kind:     global_buffer
      - .address_space:  global
        .offset:         8
        .size:           8
        .value_kind:     global_buffer
      - .address_space:  global
        .offset:         16
        .size:           8
        .value_kind:     global_buffer
    .group_segment_fixed_size: 2048
    .kernarg_segment_align: 8
    .kernarg_segment_size: 24
    .language:       OpenCL C
    .language_version:
      - 2
      - 0
    .max_flat_workgroup_size: 512
    .name:           _Z34subtract_right_partial_tile_kernelIsss10custom_op1Lj512ELj8EEvPKT_PiPT1_
    .private_segment_fixed_size: 0
    .sgpr_count:     11
    .sgpr_spill_count: 0
    .symbol:         _Z34subtract_right_partial_tile_kernelIsss10custom_op1Lj512ELj8EEvPKT_PiPT1_.kd
    .uniform_work_group_size: 1
    .uses_dynamic_stack: false
    .vgpr_count:     27
    .vgpr_spill_count: 0
    .wavefront_size: 32
  - .args:
      - .address_space:  global
        .offset:         0
        .size:           8
        .value_kind:     global_buffer
      - .address_space:  global
        .offset:         8
        .size:           8
        .value_kind:     global_buffer
      - .address_space:  global
        .offset:         16
        .size:           8
        .value_kind:     global_buffer
    .group_segment_fixed_size: 1024
    .kernarg_segment_align: 8
    .kernarg_segment_size: 24
    .language:       OpenCL C
    .language_version:
      - 2
      - 0
    .max_flat_workgroup_size: 256
    .name:           _Z34subtract_right_partial_tile_kernelIthhN6hipcub3SumELj256ELj7EEvPKT_PiPT1_
    .private_segment_fixed_size: 0
    .sgpr_count:     13
    .sgpr_spill_count: 0
    .symbol:         _Z34subtract_right_partial_tile_kernelIthhN6hipcub3SumELj256ELj7EEvPKT_PiPT1_.kd
    .uniform_work_group_size: 1
    .uses_dynamic_stack: false
    .vgpr_count:     17
    .vgpr_spill_count: 0
    .wavefront_size: 32
  - .args:
      - .address_space:  global
        .offset:         0
        .size:           8
        .value_kind:     global_buffer
      - .address_space:  global
        .offset:         8
        .size:           8
        .value_kind:     global_buffer
      - .address_space:  global
        .offset:         16
        .size:           8
        .value_kind:     global_buffer
    .group_segment_fixed_size: 1024
    .kernarg_segment_align: 8
    .kernarg_segment_size: 24
    .language:       OpenCL C
    .language_version:
      - 2
      - 0
    .max_flat_workgroup_size: 128
    .name:           _Z34subtract_right_partial_tile_kernelIiss10custom_op2Lj128ELj4EEvPKT_PiPT1_
    .private_segment_fixed_size: 0
    .sgpr_count:     13
    .sgpr_spill_count: 0
    .symbol:         _Z34subtract_right_partial_tile_kernelIiss10custom_op2Lj128ELj4EEvPKT_PiPT1_.kd
    .uniform_work_group_size: 1
    .uses_dynamic_stack: false
    .vgpr_count:     11
    .vgpr_spill_count: 0
    .wavefront_size: 32
  - .args:
      - .address_space:  global
        .offset:         0
        .size:           8
        .value_kind:     global_buffer
      - .address_space:  global
        .offset:         8
        .size:           8
        .value_kind:     global_buffer
      - .address_space:  global
        .offset:         16
        .size:           8
        .value_kind:     global_buffer
    .group_segment_fixed_size: 512
    .kernarg_segment_align: 8
    .kernarg_segment_size: 24
    .language:       OpenCL C
    .language_version:
      - 2
      - 0
    .max_flat_workgroup_size: 64
    .name:           _Z34subtract_right_partial_tile_kernelIicc10custom_op1Lj64ELj2EEvPKT_PiPT1_
    .private_segment_fixed_size: 0
    .sgpr_count:     13
    .sgpr_spill_count: 0
    .symbol:         _Z34subtract_right_partial_tile_kernelIicc10custom_op1Lj64ELj2EEvPKT_PiPT1_.kd
    .uniform_work_group_size: 1
    .uses_dynamic_stack: false
    .vgpr_count:     7
    .vgpr_spill_count: 0
    .wavefront_size: 32
  - .args:
      - .address_space:  global
        .offset:         0
        .size:           8
        .value_kind:     global_buffer
      - .address_space:  global
        .offset:         8
        .size:           8
        .value_kind:     global_buffer
      - .address_space:  global
        .offset:         16
        .size:           8
        .value_kind:     global_buffer
    .group_segment_fixed_size: 510
    .kernarg_segment_align: 8
    .kernarg_segment_size: 24
    .language:       OpenCL C
    .language_version:
      - 2
      - 0
    .max_flat_workgroup_size: 255
    .name:           _Z34subtract_right_partial_tile_kernelIhbiN6hipcub3SumELj255ELj1EEvPKT_PiPT1_
    .private_segment_fixed_size: 0
    .sgpr_count:     11
    .sgpr_spill_count: 0
    .symbol:         _Z34subtract_right_partial_tile_kernelIhbiN6hipcub3SumELj255ELj1EEvPKT_PiPT1_.kd
    .uniform_work_group_size: 1
    .uses_dynamic_stack: false
    .vgpr_count:     3
    .vgpr_spill_count: 0
    .wavefront_size: 32
  - .args:
      - .address_space:  global
        .offset:         0
        .size:           8
        .value_kind:     global_buffer
      - .address_space:  global
        .offset:         8
        .size:           8
        .value_kind:     global_buffer
      - .address_space:  global
        .offset:         16
        .size:           8
        .value_kind:     global_buffer
    .group_segment_fixed_size: 1296
    .kernarg_segment_align: 8
    .kernarg_segment_size: 24
    .language:       OpenCL C
    .language_version:
      - 2
      - 0
    .max_flat_workgroup_size: 162
    .name:           _Z34subtract_right_partial_tile_kernelIjxx10custom_op2Lj162ELj1EEvPKT_PiPT1_
    .private_segment_fixed_size: 0
    .sgpr_count:     13
    .sgpr_spill_count: 0
    .symbol:         _Z34subtract_right_partial_tile_kernelIjxx10custom_op2Lj162ELj1EEvPKT_PiPT1_.kd
    .uniform_work_group_size: 1
    .uses_dynamic_stack: false
    .vgpr_count:     5
    .vgpr_spill_count: 0
    .wavefront_size: 32
  - .args:
      - .address_space:  global
        .offset:         0
        .size:           8
        .value_kind:     global_buffer
      - .address_space:  global
        .offset:         8
        .size:           8
        .value_kind:     global_buffer
      - .address_space:  global
        .offset:         16
        .size:           8
        .value_kind:     global_buffer
    .group_segment_fixed_size: 8160
    .kernarg_segment_align: 8
    .kernarg_segment_size: 24
    .language:       OpenCL C
    .language_version:
      - 2
      - 0
    .max_flat_workgroup_size: 510
    .name:           _Z34subtract_right_partial_tile_kernelIxcc10custom_op1Lj510ELj1EEvPKT_PiPT1_
    .private_segment_fixed_size: 0
    .sgpr_count:     13
    .sgpr_spill_count: 0
    .symbol:         _Z34subtract_right_partial_tile_kernelIxcc10custom_op1Lj510ELj1EEvPKT_PiPT1_.kd
    .uniform_work_group_size: 1
    .uses_dynamic_stack: false
    .vgpr_count:     6
    .vgpr_spill_count: 0
    .wavefront_size: 32
  - .args:
      - .address_space:  global
        .offset:         0
        .size:           8
        .value_kind:     global_buffer
      - .address_space:  global
        .offset:         8
        .size:           8
        .value_kind:     global_buffer
      - .address_space:  global
        .offset:         16
        .size:           8
        .value_kind:     global_buffer
    .group_segment_fixed_size: 296
    .kernarg_segment_align: 8
    .kernarg_segment_size: 24
    .language:       OpenCL C
    .language_version:
      - 2
      - 0
    .max_flat_workgroup_size: 37
    .name:           _Z34subtract_right_partial_tile_kernelIfiiN6hipcub3SumELj37ELj1EEvPKT_PiPT1_
    .private_segment_fixed_size: 0
    .sgpr_count:     11
    .sgpr_spill_count: 0
    .symbol:         _Z34subtract_right_partial_tile_kernelIfiiN6hipcub3SumELj37ELj1EEvPKT_PiPT1_.kd
    .uniform_work_group_size: 1
    .uses_dynamic_stack: false
    .vgpr_count:     4
    .vgpr_spill_count: 0
    .wavefront_size: 32
  - .args:
      - .address_space:  global
        .offset:         0
        .size:           8
        .value_kind:     global_buffer
      - .address_space:  global
        .offset:         8
        .size:           8
        .value_kind:     global_buffer
      - .address_space:  global
        .offset:         16
        .size:           8
        .value_kind:     global_buffer
    .group_segment_fixed_size: 2048
    .kernarg_segment_align: 8
    .kernarg_segment_size: 24
    .language:       OpenCL C
    .language_version:
      - 2
      - 0
    .max_flat_workgroup_size: 256
    .name:           _Z34subtract_right_partial_tile_kernelIibi10custom_op1Lj256ELj1EEvPKT_PiPT1_
    .private_segment_fixed_size: 0
    .sgpr_count:     11
    .sgpr_spill_count: 0
    .symbol:         _Z34subtract_right_partial_tile_kernelIibi10custom_op1Lj256ELj1EEvPKT_PiPT1_.kd
    .uniform_work_group_size: 1
    .uses_dynamic_stack: false
    .vgpr_count:     5
    .vgpr_spill_count: 0
    .wavefront_size: 32
  - .args:
      - .address_space:  global
        .offset:         0
        .size:           8
        .value_kind:     global_buffer
      - .address_space:  global
        .offset:         8
        .size:           8
        .value_kind:     global_buffer
      - .address_space:  global
        .offset:         16
        .size:           8
        .value_kind:     global_buffer
    .group_segment_fixed_size: 1024
    .kernarg_segment_align: 8
    .kernarg_segment_size: 24
    .language:       OpenCL C
    .language_version:
      - 2
      - 0
    .max_flat_workgroup_size: 256
    .name:           _Z34subtract_right_partial_tile_kernelI12hip_bfloat16ii10custom_op2Lj256ELj1EEvPKT_PiPT1_
    .private_segment_fixed_size: 0
    .sgpr_count:     13
    .sgpr_spill_count: 0
    .symbol:         _Z34subtract_right_partial_tile_kernelI12hip_bfloat16ii10custom_op2Lj256ELj1EEvPKT_PiPT1_.kd
    .uniform_work_group_size: 1
    .uses_dynamic_stack: false
    .vgpr_count:     5
    .vgpr_spill_count: 0
    .wavefront_size: 32
  - .args:
      - .address_space:  global
        .offset:         0
        .size:           8
        .value_kind:     global_buffer
      - .address_space:  global
        .offset:         8
        .size:           8
        .value_kind:     global_buffer
      - .address_space:  global
        .offset:         16
        .size:           8
        .value_kind:     global_buffer
    .group_segment_fixed_size: 1024
    .kernarg_segment_align: 8
    .kernarg_segment_size: 24
    .language:       OpenCL C
    .language_version:
      - 2
      - 0
    .max_flat_workgroup_size: 256
    .name:           _Z34subtract_right_partial_tile_kernelI6__halfii10custom_op1Lj256ELj1EEvPKT_PiPT1_
    .private_segment_fixed_size: 0
    .sgpr_count:     13
    .sgpr_spill_count: 0
    .symbol:         _Z34subtract_right_partial_tile_kernelI6__halfii10custom_op1Lj256ELj1EEvPKT_PiPT1_.kd
    .uniform_work_group_size: 1
    .uses_dynamic_stack: false
    .vgpr_count:     4
    .vgpr_spill_count: 0
    .wavefront_size: 32
  - .args:
      - .address_space:  global
        .offset:         0
        .size:           8
        .value_kind:     global_buffer
      - .address_space:  global
        .offset:         8
        .size:           8
        .value_kind:     global_buffer
      - .address_space:  global
        .offset:         16
        .size:           8
        .value_kind:     global_buffer
    .group_segment_fixed_size: 2048
    .kernarg_segment_align: 8
    .kernarg_segment_size: 24
    .language:       OpenCL C
    .language_version:
      - 2
      - 0
    .max_flat_workgroup_size: 256
    .name:           _Z34subtract_right_partial_tile_kernelIfii10custom_op2Lj256ELj1EEvPKT_PiPT1_
    .private_segment_fixed_size: 0
    .sgpr_count:     11
    .sgpr_spill_count: 0
    .symbol:         _Z34subtract_right_partial_tile_kernelIfii10custom_op2Lj256ELj1EEvPKT_PiPT1_.kd
    .uniform_work_group_size: 1
    .uses_dynamic_stack: false
    .vgpr_count:     4
    .vgpr_spill_count: 0
    .wavefront_size: 32
  - .args:
      - .address_space:  global
        .offset:         0
        .size:           8
        .value_kind:     global_buffer
      - .address_space:  global
        .offset:         8
        .size:           8
        .value_kind:     global_buffer
      - .address_space:  global
        .offset:         16
        .size:           8
        .value_kind:     global_buffer
    .group_segment_fixed_size: 1024
    .kernarg_segment_align: 8
    .kernarg_segment_size: 24
    .language:       OpenCL C
    .language_version:
      - 2
      - 0
    .max_flat_workgroup_size: 128
    .name:           _Z34subtract_right_partial_tile_kernelIibi10custom_op1Lj128ELj1EEvPKT_PiPT1_
    .private_segment_fixed_size: 0
    .sgpr_count:     11
    .sgpr_spill_count: 0
    .symbol:         _Z34subtract_right_partial_tile_kernelIibi10custom_op1Lj128ELj1EEvPKT_PiPT1_.kd
    .uniform_work_group_size: 1
    .uses_dynamic_stack: false
    .vgpr_count:     5
    .vgpr_spill_count: 0
    .wavefront_size: 32
  - .args:
      - .address_space:  global
        .offset:         0
        .size:           8
        .value_kind:     global_buffer
      - .address_space:  global
        .offset:         8
        .size:           8
        .value_kind:     global_buffer
      - .address_space:  global
        .offset:         16
        .size:           8
        .value_kind:     global_buffer
    .group_segment_fixed_size: 512
    .kernarg_segment_align: 8
    .kernarg_segment_size: 24
    .language:       OpenCL C
    .language_version:
      - 2
      - 0
    .max_flat_workgroup_size: 64
    .name:           _Z34subtract_right_partial_tile_kernelIjiiN6hipcub3SumELj64ELj1EEvPKT_PiPT1_
    .private_segment_fixed_size: 0
    .sgpr_count:     11
    .sgpr_spill_count: 0
    .symbol:         _Z34subtract_right_partial_tile_kernelIjiiN6hipcub3SumELj64ELj1EEvPKT_PiPT1_.kd
    .uniform_work_group_size: 1
    .uses_dynamic_stack: false
    .vgpr_count:     4
    .vgpr_spill_count: 0
    .wavefront_size: 32
amdhsa.target:   amdgcn-amd-amdhsa--gfx1250
amdhsa.version:
  - 1
  - 2
...

	.end_amdgpu_metadata
